;; amdgpu-corpus repo=ROCm/rocFFT kind=compiled arch=gfx950 opt=O3
	.text
	.amdgcn_target "amdgcn-amd-amdhsa--gfx950"
	.amdhsa_code_object_version 6
	.protected	fft_rtc_back_len1666_factors_17_2_7_7_wgs_119_tpt_119_halfLds_dp_op_CI_CI_unitstride_sbrr_C2R_dirReg ; -- Begin function fft_rtc_back_len1666_factors_17_2_7_7_wgs_119_tpt_119_halfLds_dp_op_CI_CI_unitstride_sbrr_C2R_dirReg
	.globl	fft_rtc_back_len1666_factors_17_2_7_7_wgs_119_tpt_119_halfLds_dp_op_CI_CI_unitstride_sbrr_C2R_dirReg
	.p2align	8
	.type	fft_rtc_back_len1666_factors_17_2_7_7_wgs_119_tpt_119_halfLds_dp_op_CI_CI_unitstride_sbrr_C2R_dirReg,@function
fft_rtc_back_len1666_factors_17_2_7_7_wgs_119_tpt_119_halfLds_dp_op_CI_CI_unitstride_sbrr_C2R_dirReg: ; @fft_rtc_back_len1666_factors_17_2_7_7_wgs_119_tpt_119_halfLds_dp_op_CI_CI_unitstride_sbrr_C2R_dirReg
; %bb.0:
	s_load_dwordx4 s[4:7], s[0:1], 0x58
	s_load_dwordx4 s[8:11], s[0:1], 0x0
	;; [unrolled: 1-line block ×3, first 2 shown]
	v_mul_u32_u24_e32 v1, 0x227, v0
	v_add_u32_sdwa v6, s2, v1 dst_sel:DWORD dst_unused:UNUSED_PAD src0_sel:DWORD src1_sel:WORD_1
	v_mov_b32_e32 v4, 0
	s_waitcnt lgkmcnt(0)
	v_cmp_lt_u64_e64 s[2:3], s[10:11], 2
	v_mov_b32_e32 v7, v4
	s_and_b64 vcc, exec, s[2:3]
	v_mov_b64_e32 v[2:3], 0
	s_cbranch_vccnz .LBB0_8
; %bb.1:
	s_load_dwordx2 s[2:3], s[0:1], 0x10
	s_add_u32 s16, s14, 8
	s_addc_u32 s17, s15, 0
	s_add_u32 s18, s12, 8
	s_addc_u32 s19, s13, 0
	s_waitcnt lgkmcnt(0)
	s_add_u32 s20, s2, 8
	v_mov_b64_e32 v[2:3], 0
	s_addc_u32 s21, s3, 0
	s_mov_b64 s[22:23], 1
	v_mov_b64_e32 v[120:121], v[2:3]
.LBB0_2:                                ; =>This Inner Loop Header: Depth=1
	s_load_dwordx2 s[24:25], s[20:21], 0x0
                                        ; implicit-def: $vgpr122_vgpr123
	s_waitcnt lgkmcnt(0)
	v_or_b32_e32 v5, s25, v7
	v_cmp_ne_u64_e32 vcc, 0, v[4:5]
	s_and_saveexec_b64 s[2:3], vcc
	s_xor_b64 s[26:27], exec, s[2:3]
	s_cbranch_execz .LBB0_4
; %bb.3:                                ;   in Loop: Header=BB0_2 Depth=1
	v_cvt_f32_u32_e32 v1, s24
	v_cvt_f32_u32_e32 v5, s25
	s_sub_u32 s2, 0, s24
	s_subb_u32 s3, 0, s25
	v_fmac_f32_e32 v1, 0x4f800000, v5
	v_rcp_f32_e32 v1, v1
	s_nop 0
	v_mul_f32_e32 v1, 0x5f7ffffc, v1
	v_mul_f32_e32 v5, 0x2f800000, v1
	v_trunc_f32_e32 v5, v5
	v_fmac_f32_e32 v1, 0xcf800000, v5
	v_cvt_u32_f32_e32 v5, v5
	v_cvt_u32_f32_e32 v1, v1
	v_mul_lo_u32 v8, s2, v5
	v_mul_hi_u32 v10, s2, v1
	v_mul_lo_u32 v9, s3, v1
	v_add_u32_e32 v10, v10, v8
	v_mul_lo_u32 v12, s2, v1
	v_add_u32_e32 v13, v10, v9
	v_mul_hi_u32 v8, v1, v12
	v_mul_hi_u32 v11, v1, v13
	v_mul_lo_u32 v10, v1, v13
	v_mov_b32_e32 v9, v4
	v_lshl_add_u64 v[8:9], v[8:9], 0, v[10:11]
	v_mul_hi_u32 v11, v5, v12
	v_mul_lo_u32 v12, v5, v12
	v_add_co_u32_e32 v8, vcc, v8, v12
	v_mul_hi_u32 v10, v5, v13
	s_nop 0
	v_addc_co_u32_e32 v8, vcc, v9, v11, vcc
	v_mov_b32_e32 v9, v4
	s_nop 0
	v_addc_co_u32_e32 v11, vcc, 0, v10, vcc
	v_mul_lo_u32 v10, v5, v13
	v_lshl_add_u64 v[8:9], v[8:9], 0, v[10:11]
	v_add_co_u32_e32 v1, vcc, v1, v8
	v_mul_lo_u32 v10, s2, v1
	s_nop 0
	v_addc_co_u32_e32 v5, vcc, v5, v9, vcc
	v_mul_lo_u32 v8, s2, v5
	v_mul_hi_u32 v9, s2, v1
	v_add_u32_e32 v8, v9, v8
	v_mul_lo_u32 v9, s3, v1
	v_add_u32_e32 v12, v8, v9
	v_mul_hi_u32 v14, v5, v10
	v_mul_lo_u32 v15, v5, v10
	v_mul_hi_u32 v9, v1, v12
	v_mul_lo_u32 v8, v1, v12
	v_mul_hi_u32 v10, v1, v10
	v_mov_b32_e32 v11, v4
	v_lshl_add_u64 v[8:9], v[10:11], 0, v[8:9]
	v_add_co_u32_e32 v8, vcc, v8, v15
	v_mul_hi_u32 v13, v5, v12
	s_nop 0
	v_addc_co_u32_e32 v8, vcc, v9, v14, vcc
	v_mul_lo_u32 v10, v5, v12
	s_nop 0
	v_addc_co_u32_e32 v11, vcc, 0, v13, vcc
	v_mov_b32_e32 v9, v4
	v_lshl_add_u64 v[8:9], v[8:9], 0, v[10:11]
	v_add_co_u32_e32 v1, vcc, v1, v8
	v_mul_hi_u32 v10, v6, v1
	s_nop 0
	v_addc_co_u32_e32 v5, vcc, v5, v9, vcc
	v_mad_u64_u32 v[8:9], s[2:3], v6, v5, 0
	v_mov_b32_e32 v11, v4
	v_lshl_add_u64 v[8:9], v[10:11], 0, v[8:9]
	v_mad_u64_u32 v[12:13], s[2:3], v7, v1, 0
	v_add_co_u32_e32 v1, vcc, v8, v12
	v_mad_u64_u32 v[10:11], s[2:3], v7, v5, 0
	s_nop 0
	v_addc_co_u32_e32 v8, vcc, v9, v13, vcc
	v_mov_b32_e32 v9, v4
	s_nop 0
	v_addc_co_u32_e32 v11, vcc, 0, v11, vcc
	v_lshl_add_u64 v[8:9], v[8:9], 0, v[10:11]
	v_mul_lo_u32 v1, s25, v8
	v_mul_lo_u32 v5, s24, v9
	v_mad_u64_u32 v[10:11], s[2:3], s24, v8, 0
	v_add3_u32 v1, v11, v5, v1
	v_sub_u32_e32 v5, v7, v1
	v_mov_b32_e32 v11, s25
	v_sub_co_u32_e32 v14, vcc, v6, v10
	v_lshl_add_u64 v[12:13], v[8:9], 0, 1
	s_nop 0
	v_subb_co_u32_e64 v5, s[2:3], v5, v11, vcc
	v_subrev_co_u32_e64 v10, s[2:3], s24, v14
	v_subb_co_u32_e32 v1, vcc, v7, v1, vcc
	s_nop 0
	v_subbrev_co_u32_e64 v5, s[2:3], 0, v5, s[2:3]
	v_cmp_le_u32_e64 s[2:3], s25, v5
	v_cmp_le_u32_e32 vcc, s25, v1
	s_nop 0
	v_cndmask_b32_e64 v11, 0, -1, s[2:3]
	v_cmp_le_u32_e64 s[2:3], s24, v10
	s_nop 1
	v_cndmask_b32_e64 v10, 0, -1, s[2:3]
	v_cmp_eq_u32_e64 s[2:3], s25, v5
	s_nop 1
	v_cndmask_b32_e64 v5, v11, v10, s[2:3]
	v_lshl_add_u64 v[10:11], v[8:9], 0, 2
	v_cmp_ne_u32_e64 s[2:3], 0, v5
	s_nop 1
	v_cndmask_b32_e64 v5, v13, v11, s[2:3]
	v_cndmask_b32_e64 v11, 0, -1, vcc
	v_cmp_le_u32_e32 vcc, s24, v14
	s_nop 1
	v_cndmask_b32_e64 v13, 0, -1, vcc
	v_cmp_eq_u32_e32 vcc, s25, v1
	s_nop 1
	v_cndmask_b32_e32 v1, v11, v13, vcc
	v_cmp_ne_u32_e32 vcc, 0, v1
	v_cndmask_b32_e64 v1, v12, v10, s[2:3]
	s_nop 0
	v_cndmask_b32_e32 v123, v9, v5, vcc
	v_cndmask_b32_e32 v122, v8, v1, vcc
.LBB0_4:                                ;   in Loop: Header=BB0_2 Depth=1
	s_andn2_saveexec_b64 s[2:3], s[26:27]
	s_cbranch_execz .LBB0_6
; %bb.5:                                ;   in Loop: Header=BB0_2 Depth=1
	v_cvt_f32_u32_e32 v1, s24
	s_sub_i32 s26, 0, s24
	v_mov_b32_e32 v123, v4
	v_rcp_iflag_f32_e32 v1, v1
	s_nop 0
	v_mul_f32_e32 v1, 0x4f7ffffe, v1
	v_cvt_u32_f32_e32 v1, v1
	v_mul_lo_u32 v5, s26, v1
	v_mul_hi_u32 v5, v1, v5
	v_add_u32_e32 v1, v1, v5
	v_mul_hi_u32 v1, v6, v1
	v_mul_lo_u32 v5, v1, s24
	v_sub_u32_e32 v5, v6, v5
	v_add_u32_e32 v8, 1, v1
	v_subrev_u32_e32 v9, s24, v5
	v_cmp_le_u32_e32 vcc, s24, v5
	s_nop 1
	v_cndmask_b32_e32 v5, v5, v9, vcc
	v_cndmask_b32_e32 v1, v1, v8, vcc
	v_add_u32_e32 v8, 1, v1
	v_cmp_le_u32_e32 vcc, s24, v5
	s_nop 1
	v_cndmask_b32_e32 v122, v1, v8, vcc
.LBB0_6:                                ;   in Loop: Header=BB0_2 Depth=1
	s_or_b64 exec, exec, s[2:3]
	v_mad_u64_u32 v[8:9], s[2:3], v122, s24, 0
	s_load_dwordx2 s[2:3], s[18:19], 0x0
	v_mul_lo_u32 v1, v123, s24
	v_mul_lo_u32 v5, v122, s25
	s_load_dwordx2 s[24:25], s[16:17], 0x0
	s_add_u32 s22, s22, 1
	v_add3_u32 v1, v9, v5, v1
	v_sub_co_u32_e32 v5, vcc, v6, v8
	s_addc_u32 s23, s23, 0
	s_nop 0
	v_subb_co_u32_e32 v1, vcc, v7, v1, vcc
	s_add_u32 s16, s16, 8
	s_waitcnt lgkmcnt(0)
	v_mul_lo_u32 v6, s2, v1
	v_mul_lo_u32 v7, s3, v5
	v_mad_u64_u32 v[2:3], s[2:3], s2, v5, v[2:3]
	s_addc_u32 s17, s17, 0
	v_add3_u32 v3, v7, v3, v6
	v_mul_lo_u32 v1, s24, v1
	v_mul_lo_u32 v6, s25, v5
	v_mad_u64_u32 v[120:121], s[2:3], s24, v5, v[120:121]
	s_add_u32 s18, s18, 8
	v_add3_u32 v121, v6, v121, v1
	s_addc_u32 s19, s19, 0
	v_mov_b64_e32 v[6:7], s[10:11]
	s_add_u32 s20, s20, 8
	v_cmp_ge_u64_e32 vcc, s[22:23], v[6:7]
	s_addc_u32 s21, s21, 0
	s_cbranch_vccnz .LBB0_9
; %bb.7:                                ;   in Loop: Header=BB0_2 Depth=1
	v_mov_b64_e32 v[6:7], v[122:123]
	s_branch .LBB0_2
.LBB0_8:
	v_mov_b64_e32 v[120:121], v[2:3]
	v_mov_b64_e32 v[122:123], v[6:7]
.LBB0_9:
	s_load_dwordx2 s[18:19], s[0:1], 0x28
	s_lshl_b64 s[16:17], s[10:11], 3
	s_add_u32 s2, s14, s16
	s_addc_u32 s3, s15, s17
                                        ; implicit-def: $vgpr124
	s_waitcnt lgkmcnt(0)
	v_cmp_gt_u64_e64 s[0:1], s[18:19], v[122:123]
	v_cmp_le_u64_e32 vcc, s[18:19], v[122:123]
	s_and_saveexec_b64 s[10:11], vcc
	s_xor_b64 s[10:11], exec, s[10:11]
; %bb.10:
	s_mov_b32 s14, 0x226b903
	v_mul_hi_u32 v1, v0, s14
	v_mul_u32_u24_e32 v1, 0x77, v1
	v_sub_u32_e32 v124, v0, v1
                                        ; implicit-def: $vgpr0
                                        ; implicit-def: $vgpr2_vgpr3
; %bb.11:
	s_or_saveexec_b64 s[10:11], s[10:11]
	s_load_dwordx2 s[2:3], s[2:3], 0x0
	s_xor_b64 exec, exec, s[10:11]
	s_cbranch_execz .LBB0_15
; %bb.12:
	s_add_u32 s12, s12, s16
	s_addc_u32 s13, s13, s17
	s_load_dwordx2 s[12:13], s[12:13], 0x0
	s_mov_b32 s14, 0x226b903
	s_waitcnt lgkmcnt(0)
	v_mul_lo_u32 v1, s13, v122
	v_mul_lo_u32 v6, s12, v123
	v_mad_u64_u32 v[4:5], s[12:13], s12, v122, 0
	v_add3_u32 v5, v5, v6, v1
	v_mul_hi_u32 v1, v0, s14
	v_mul_u32_u24_e32 v1, 0x77, v1
	v_sub_u32_e32 v124, v0, v1
	v_lshl_add_u64 v[0:1], v[4:5], 4, s[4:5]
	v_lshl_add_u64 v[2:3], v[2:3], 4, v[0:1]
	v_lshlrev_b32_e32 v0, 4, v124
	v_mov_b32_e32 v1, 0
	v_lshl_add_u64 v[52:53], v[2:3], 0, v[0:1]
	s_movk_i32 s4, 0x1000
	v_add_co_u32_e32 v44, vcc, s4, v52
	s_movk_i32 s5, 0x2000
	s_nop 0
	v_addc_co_u32_e32 v45, vcc, 0, v53, vcc
	v_add_co_u32_e32 v46, vcc, s5, v52
	s_movk_i32 s12, 0x3000
	s_nop 0
	v_addc_co_u32_e32 v47, vcc, 0, v53, vcc
	;; [unrolled: 4-line block ×4, first 2 shown]
	v_add_co_u32_e32 v60, vcc, s14, v52
	global_load_dwordx4 v[4:7], v[52:53], off
	global_load_dwordx4 v[8:11], v[52:53], off offset:1904
	v_addc_co_u32_e32 v61, vcc, 0, v53, vcc
	v_add_co_u32_e32 v62, vcc, 0x6000, v52
	global_load_dwordx4 v[12:15], v[52:53], off offset:3808
	global_load_dwordx4 v[16:19], v[44:45], off offset:1616
	global_load_dwordx4 v[20:23], v[44:45], off offset:3520
	global_load_dwordx4 v[24:27], v[46:47], off offset:1328
	global_load_dwordx4 v[28:31], v[46:47], off offset:3232
	global_load_dwordx4 v[32:35], v[48:49], off offset:1040
	global_load_dwordx4 v[36:39], v[48:49], off offset:2944
	global_load_dwordx4 v[40:43], v[54:55], off offset:752
	s_nop 0
	global_load_dwordx4 v[44:47], v[54:55], off offset:2656
	global_load_dwordx4 v[48:51], v[60:61], off offset:464
	v_addc_co_u32_e32 v63, vcc, 0, v53, vcc
	global_load_dwordx4 v[52:55], v[60:61], off offset:2368
	global_load_dwordx4 v[56:59], v[62:63], off offset:176
	s_movk_i32 s4, 0x76
	v_add_u32_e32 v0, 0, v0
	v_cmp_eq_u32_e32 vcc, s4, v124
	s_waitcnt vmcnt(13)
	ds_write_b128 v0, v[4:7]
	s_waitcnt vmcnt(12)
	ds_write_b128 v0, v[8:11] offset:1904
	s_waitcnt vmcnt(11)
	ds_write_b128 v0, v[12:15] offset:3808
	;; [unrolled: 2-line block ×13, first 2 shown]
	s_and_saveexec_b64 s[4:5], vcc
	s_cbranch_execz .LBB0_14
; %bb.13:
	v_add_co_u32_e32 v2, vcc, 0x6000, v2
	v_mov_b32_e32 v124, 0x76
	s_nop 0
	v_addc_co_u32_e32 v3, vcc, 0, v3, vcc
	global_load_dwordx4 v[2:5], v[2:3], off offset:2080
	s_waitcnt vmcnt(0)
	ds_write_b128 v1, v[2:5] offset:26656
.LBB0_14:
	s_or_b64 exec, exec, s[4:5]
.LBB0_15:
	s_or_b64 exec, exec, s[10:11]
	v_lshlrev_b32_e32 v0, 4, v124
	v_add_u32_e32 v198, 0, v0
	s_waitcnt lgkmcnt(0)
	s_barrier
	v_sub_u32_e32 v14, 0, v0
	ds_read_b64 v[2:3], v198
	ds_read_b64 v[8:9], v14 offset:26656
	s_add_u32 s4, s8, 0x6710
	s_addc_u32 s5, s9, 0
	v_cmp_ne_u32_e32 vcc, 0, v124
                                        ; implicit-def: $vgpr0_vgpr1
	s_waitcnt lgkmcnt(0)
	v_add_f64 v[4:5], v[2:3], v[8:9]
	v_add_f64 v[6:7], v[2:3], -v[8:9]
	s_and_saveexec_b64 s[10:11], vcc
	s_xor_b64 s[10:11], exec, s[10:11]
	s_cbranch_execz .LBB0_17
; %bb.16:
	v_mov_b32_e32 v125, 0
	v_lshl_add_u64 v[0:1], v[124:125], 4, s[4:5]
	global_load_dwordx4 v[10:13], v[0:1], off
	ds_read_b64 v[0:1], v14 offset:26664
	ds_read_b64 v[4:5], v198 offset:8
	v_add_f64 v[16:17], v[2:3], v[8:9]
	v_add_f64 v[8:9], v[2:3], -v[8:9]
	s_waitcnt lgkmcnt(0)
	v_add_f64 v[18:19], v[0:1], v[4:5]
	v_add_f64 v[2:3], v[4:5], -v[0:1]
	s_waitcnt vmcnt(0)
	v_fma_f64 v[6:7], v[18:19], v[12:13], v[2:3]
	v_fma_f64 v[0:1], -v[8:9], v[12:13], v[16:17]
	v_fma_f64 v[2:3], v[18:19], v[12:13], -v[2:3]
	v_fma_f64 v[4:5], v[8:9], v[12:13], v[16:17]
	v_fmac_f64_e32 v[0:1], v[18:19], v[10:11]
	v_fmac_f64_e32 v[2:3], v[8:9], v[10:11]
	v_fma_f64 v[4:5], -v[18:19], v[10:11], v[4:5]
	v_fmac_f64_e32 v[6:7], v[8:9], v[10:11]
	ds_write_b128 v14, v[0:3] offset:26656
	v_mov_b64_e32 v[0:1], v[124:125]
.LBB0_17:
	s_andn2_saveexec_b64 s[10:11], s[10:11]
	s_cbranch_execz .LBB0_19
; %bb.18:
	v_mov_b32_e32 v8, 0
	ds_read_b128 v[0:3], v8 offset:13328
	s_waitcnt lgkmcnt(0)
	v_add_f64 v[0:1], v[0:1], v[0:1]
	v_mul_f64 v[2:3], v[2:3], -2.0
	ds_write_b128 v8, v[0:3] offset:13328
	v_mov_b64_e32 v[0:1], 0
.LBB0_19:
	s_or_b64 exec, exec, s[10:11]
	v_lshl_add_u64 v[12:13], v[0:1], 4, s[4:5]
	global_load_dwordx4 v[0:3], v[12:13], off offset:1904
	v_add_u32_e32 v126, 0xee, v124
	v_mov_b32_e32 v127, 0
	v_lshl_add_u64 v[8:9], v[126:127], 4, s[4:5]
	global_load_dwordx4 v[8:11], v[8:9], off
	v_add_u32_e32 v128, 0x165, v124
	v_mov_b32_e32 v129, v127
	v_lshl_add_u64 v[16:17], v[128:129], 4, s[4:5]
	global_load_dwordx4 v[16:19], v[16:17], off
	;; [unrolled: 4-line block ×3, first 2 shown]
	v_add_u32_e32 v132, 0x253, v124
	v_mov_b32_e32 v133, v127
	ds_write_b128 v198, v[4:7]
	v_lshl_add_u64 v[28:29], v[132:133], 4, s[4:5]
	ds_read_b128 v[4:7], v198 offset:1904
	ds_read_b128 v[24:27], v14 offset:24752
	global_load_dwordx4 v[28:31], v[28:29], off
	s_movk_i32 s10, 0x2000
	v_add_co_u32_e32 v12, vcc, s10, v12
	s_waitcnt lgkmcnt(0)
	v_add_f64 v[32:33], v[4:5], v[24:25]
	v_add_f64 v[34:35], v[26:27], v[6:7]
	v_add_f64 v[36:37], v[4:5], -v[24:25]
	v_add_f64 v[6:7], v[6:7], -v[26:27]
	v_lshl_add_u32 v125, v126, 4, 0
	v_addc_co_u32_e32 v13, vcc, 0, v13, vcc
	v_lshl_add_u32 v131, v128, 4, 0
	v_lshl_add_u32 v129, v130, 4, 0
	;; [unrolled: 1-line block ×3, first 2 shown]
	s_movk_i32 s4, 0x62
	v_cmp_gt_u32_e32 vcc, s4, v124
	s_waitcnt vmcnt(4)
	v_fma_f64 v[38:39], v[36:37], v[2:3], v[32:33]
	v_fma_f64 v[4:5], v[34:35], v[2:3], v[6:7]
	v_fma_f64 v[24:25], -v[36:37], v[2:3], v[32:33]
	v_fma_f64 v[26:27], v[34:35], v[2:3], -v[6:7]
	v_fma_f64 v[2:3], -v[34:35], v[0:1], v[38:39]
	v_fmac_f64_e32 v[4:5], v[36:37], v[0:1]
	v_fmac_f64_e32 v[24:25], v[34:35], v[0:1]
	;; [unrolled: 1-line block ×3, first 2 shown]
	ds_write_b128 v198, v[2:5] offset:1904
	ds_write_b128 v14, v[24:27] offset:24752
	ds_read_b128 v[0:3], v125
	ds_read_b128 v[4:7], v14 offset:22848
	global_load_dwordx4 v[24:27], v[12:13], off offset:3232
	s_waitcnt lgkmcnt(0)
	v_add_f64 v[12:13], v[0:1], v[4:5]
	v_add_f64 v[32:33], v[6:7], v[2:3]
	v_add_f64 v[34:35], v[0:1], -v[4:5]
	v_add_f64 v[0:1], v[2:3], -v[6:7]
	s_waitcnt vmcnt(4)
	v_fma_f64 v[36:37], v[34:35], v[10:11], v[12:13]
	v_fma_f64 v[2:3], v[32:33], v[10:11], v[0:1]
	v_fma_f64 v[4:5], -v[34:35], v[10:11], v[12:13]
	v_fma_f64 v[6:7], v[32:33], v[10:11], -v[0:1]
	v_fma_f64 v[0:1], -v[32:33], v[8:9], v[36:37]
	v_fmac_f64_e32 v[2:3], v[34:35], v[8:9]
	v_fmac_f64_e32 v[4:5], v[32:33], v[8:9]
	v_fmac_f64_e32 v[6:7], v[34:35], v[8:9]
	ds_write_b128 v125, v[0:3]
	ds_write_b128 v14, v[4:7] offset:22848
	ds_read_b128 v[0:3], v131
	ds_read_b128 v[4:7], v14 offset:20944
	s_waitcnt lgkmcnt(0)
	v_add_f64 v[8:9], v[0:1], v[4:5]
	v_add_f64 v[10:11], v[6:7], v[2:3]
	v_add_f64 v[12:13], v[0:1], -v[4:5]
	v_add_f64 v[0:1], v[2:3], -v[6:7]
	s_waitcnt vmcnt(3)
	v_fma_f64 v[32:33], v[12:13], v[18:19], v[8:9]
	v_fma_f64 v[2:3], v[10:11], v[18:19], v[0:1]
	v_fma_f64 v[4:5], -v[12:13], v[18:19], v[8:9]
	v_fma_f64 v[6:7], v[10:11], v[18:19], -v[0:1]
	v_fma_f64 v[0:1], -v[10:11], v[16:17], v[32:33]
	v_fmac_f64_e32 v[2:3], v[12:13], v[16:17]
	v_fmac_f64_e32 v[4:5], v[10:11], v[16:17]
	v_fmac_f64_e32 v[6:7], v[12:13], v[16:17]
	ds_write_b128 v131, v[0:3]
	ds_write_b128 v14, v[4:7] offset:20944
	ds_read_b128 v[0:3], v129
	ds_read_b128 v[4:7], v14 offset:19040
	;; [unrolled: 18-line block ×3, first 2 shown]
	s_waitcnt lgkmcnt(0)
	v_add_f64 v[8:9], v[0:1], v[4:5]
	v_add_f64 v[10:11], v[6:7], v[2:3]
	v_add_f64 v[12:13], v[0:1], -v[4:5]
	v_add_f64 v[0:1], v[2:3], -v[6:7]
	s_waitcnt vmcnt(1)
	v_fma_f64 v[16:17], v[12:13], v[30:31], v[8:9]
	v_fma_f64 v[2:3], v[10:11], v[30:31], v[0:1]
	v_fma_f64 v[4:5], -v[12:13], v[30:31], v[8:9]
	v_fma_f64 v[6:7], v[10:11], v[30:31], -v[0:1]
	v_fma_f64 v[0:1], -v[10:11], v[28:29], v[16:17]
	v_fmac_f64_e32 v[2:3], v[12:13], v[28:29]
	v_fmac_f64_e32 v[4:5], v[10:11], v[28:29]
	;; [unrolled: 1-line block ×3, first 2 shown]
	ds_write_b128 v133, v[0:3]
	ds_write_b128 v14, v[4:7] offset:17136
	ds_read_b128 v[0:3], v198 offset:11424
	ds_read_b128 v[4:7], v14 offset:15232
	s_waitcnt lgkmcnt(0)
	v_add_f64 v[8:9], v[0:1], v[4:5]
	v_add_f64 v[10:11], v[6:7], v[2:3]
	v_add_f64 v[12:13], v[0:1], -v[4:5]
	v_add_f64 v[0:1], v[2:3], -v[6:7]
	s_waitcnt vmcnt(0)
	v_fma_f64 v[16:17], v[12:13], v[26:27], v[8:9]
	v_fma_f64 v[2:3], v[10:11], v[26:27], v[0:1]
	v_fma_f64 v[4:5], -v[12:13], v[26:27], v[8:9]
	v_fma_f64 v[6:7], v[10:11], v[26:27], -v[0:1]
	v_fma_f64 v[0:1], -v[10:11], v[24:25], v[16:17]
	v_fmac_f64_e32 v[2:3], v[12:13], v[24:25]
	v_fmac_f64_e32 v[4:5], v[10:11], v[24:25]
	;; [unrolled: 1-line block ×3, first 2 shown]
	ds_write_b128 v198, v[0:3] offset:11424
	ds_write_b128 v14, v[4:7] offset:15232
	s_waitcnt lgkmcnt(0)
	s_barrier
	s_barrier
	ds_read_b128 v[60:63], v198
	ds_read_b128 v[64:67], v198 offset:1568
	ds_read_b128 v[56:59], v198 offset:3136
	;; [unrolled: 1-line block ×16, first 2 shown]
	s_waitcnt lgkmcnt(0)
	s_barrier
	s_and_saveexec_b64 s[4:5], vcc
	s_cbranch_execz .LBB0_21
; %bb.20:
	s_mov_b32 s26, 0xacd6c6b4
	s_mov_b32 s36, 0x5d8e7cdc
	v_add_f64 v[170:171], v[64:65], -v[12:13]
	s_mov_b32 s27, 0xbfc7851a
	s_mov_b32 s10, 0x7faef3
	;; [unrolled: 1-line block ×3, first 2 shown]
	v_add_f64 v[168:169], v[56:57], -v[8:9]
	s_mov_b32 s37, 0x3fd71e95
	s_mov_b32 s22, 0x370991
	v_mul_f64 v[76:77], v[170:171], s[26:27]
	v_add_f64 v[146:147], v[66:67], v[14:15]
	s_mov_b32 s11, 0xbfef7484
	v_add_f64 v[160:161], v[52:53], -v[4:5]
	s_mov_b32 s25, 0xbfe0d888
	v_mul_f64 v[74:75], v[168:169], s[36:37]
	v_add_f64 v[134:135], v[58:59], v[10:11]
	s_mov_b32 s23, 0x3fedd6d0
	v_fma_f64 v[70:71], s[10:11], v[146:147], v[76:77]
	s_mov_b32 s14, 0x910ea3b9
	s_mov_b32 s44, 0x2a9d6da3
	v_mul_f64 v[72:73], v[160:161], s[24:25]
	v_fma_f64 v[68:69], s[22:23], v[134:135], v[74:75]
	v_add_f64 v[70:71], v[62:63], v[70:71]
	v_add_f64 v[136:137], v[54:55], v[6:7]
	s_mov_b32 s15, 0xbfeb34fa
	s_mov_b32 s45, 0x3fe58eea
	;; [unrolled: 1-line block ×3, first 2 shown]
	v_add_f64 v[172:173], v[48:49], -v[0:1]
	s_mov_b32 s30, 0x6c9a05f6
	v_add_f64 v[68:69], v[68:69], v[70:71]
	v_fma_f64 v[70:71], s[14:15], v[136:137], v[72:73]
	s_mov_b32 s13, 0x3fe7a5f6
	v_mul_f64 v[78:79], v[172:173], s[44:45]
	v_add_f64 v[138:139], v[50:51], v[2:3]
	s_mov_b32 s31, 0xbfe9895b
	s_mov_b32 s16, 0x6ed5f1bb
	v_add_f64 v[174:175], v[44:45], -v[16:17]
	s_mov_b32 s38, 0x7c9e640b
	v_add_f64 v[68:69], v[70:71], v[68:69]
	v_fma_f64 v[70:71], s[12:13], v[138:139], v[78:79]
	s_mov_b32 s17, 0xbfe348c8
	v_mul_f64 v[80:81], v[174:175], s[30:31]
	v_add_f64 v[140:141], v[46:47], v[18:19]
	s_mov_b32 s39, 0x3feca52d
	s_mov_b32 s18, 0x2b2883cd
	;; [unrolled: 9-line block ×3, first 2 shown]
	v_add_f64 v[178:179], v[36:37], -v[24:25]
	v_add_f64 v[68:69], v[70:71], v[68:69]
	v_fma_f64 v[70:71], s[18:19], v[142:143], v[82:83]
	s_mov_b32 s21, 0xbfd183b1
	v_mul_f64 v[84:85], v[178:179], s[34:35]
	v_add_f64 v[144:145], v[38:39], v[26:27]
	v_add_f64 v[180:181], v[66:67], -v[14:15]
	v_add_f64 v[68:69], v[70:71], v[68:69]
	v_fma_f64 v[70:71], s[20:21], v[144:145], v[84:85]
	v_add_f64 v[164:165], v[64:65], v[12:13]
	v_mul_f64 v[86:87], v[180:181], s[26:27]
	v_add_f64 v[186:187], v[58:59], -v[10:11]
	v_add_f64 v[68:69], v[70:71], v[68:69]
	v_fma_f64 v[70:71], v[164:165], s[10:11], -v[86:87]
	v_add_f64 v[148:149], v[56:57], v[8:9]
	v_mul_f64 v[88:89], v[186:187], s[36:37]
	v_fma_f64 v[76:77], v[146:147], s[10:11], -v[76:77]
	v_add_f64 v[70:71], v[60:61], v[70:71]
	v_fma_f64 v[90:91], v[148:149], s[22:23], -v[88:89]
	v_add_f64 v[182:183], v[54:55], -v[6:7]
	v_fma_f64 v[74:75], v[134:135], s[22:23], -v[74:75]
	v_add_f64 v[76:77], v[62:63], v[76:77]
	v_add_f64 v[70:71], v[90:91], v[70:71]
	;; [unrolled: 1-line block ×3, first 2 shown]
	v_mul_f64 v[90:91], v[182:183], s[24:25]
	v_add_f64 v[74:75], v[74:75], v[76:77]
	v_fma_f64 v[72:73], v[136:137], s[14:15], -v[72:73]
	v_fma_f64 v[92:93], v[150:151], s[14:15], -v[90:91]
	v_add_f64 v[184:185], v[50:51], -v[2:3]
	v_add_f64 v[72:73], v[72:73], v[74:75]
	v_fma_f64 v[74:75], v[138:139], s[12:13], -v[78:79]
	v_add_f64 v[70:71], v[92:93], v[70:71]
	v_add_f64 v[152:153], v[48:49], v[0:1]
	v_mul_f64 v[92:93], v[184:185], s[44:45]
	v_add_f64 v[72:73], v[74:75], v[72:73]
	v_fma_f64 v[74:75], v[140:141], s[16:17], -v[80:81]
	v_fma_f64 v[94:95], v[152:153], s[12:13], -v[92:93]
	v_add_f64 v[188:189], v[46:47], -v[18:19]
	v_add_f64 v[72:73], v[74:75], v[72:73]
	v_fma_f64 v[74:75], v[142:143], s[18:19], -v[82:83]
	v_add_f64 v[70:71], v[94:95], v[70:71]
	v_add_f64 v[154:155], v[44:45], v[16:17]
	v_mul_f64 v[94:95], v[188:189], s[30:31]
	v_add_f64 v[72:73], v[74:75], v[72:73]
	v_fma_f64 v[74:75], v[144:145], s[20:21], -v[84:85]
	v_fmac_f64_e32 v[86:87], s[10:11], v[164:165]
	v_fma_f64 v[96:97], v[154:155], s[16:17], -v[94:95]
	v_add_f64 v[190:191], v[42:43], -v[22:23]
	v_add_f64 v[72:73], v[74:75], v[72:73]
	v_fmac_f64_e32 v[88:89], s[22:23], v[148:149]
	v_add_f64 v[74:75], v[60:61], v[86:87]
	v_add_f64 v[70:71], v[96:97], v[70:71]
	;; [unrolled: 1-line block ×3, first 2 shown]
	v_mul_f64 v[96:97], v[190:191], s[38:39]
	v_add_f64 v[74:75], v[88:89], v[74:75]
	v_fmac_f64_e32 v[90:91], s[14:15], v[150:151]
	v_fma_f64 v[98:99], v[156:157], s[18:19], -v[96:97]
	v_add_f64 v[192:193], v[38:39], -v[26:27]
	s_mov_b32 s56, 0xeb564b22
	v_add_f64 v[74:75], v[90:91], v[74:75]
	v_fmac_f64_e32 v[92:93], s[12:13], v[152:153]
	v_add_f64 v[70:71], v[98:99], v[70:71]
	v_add_f64 v[158:159], v[36:37], v[24:25]
	v_mul_f64 v[98:99], v[192:193], s[34:35]
	s_mov_b32 s57, 0x3fefdd0d
	s_mov_b32 s28, 0x3259b75e
	v_add_f64 v[194:195], v[32:33], -v[28:29]
	v_add_f64 v[74:75], v[92:93], v[74:75]
	v_fmac_f64_e32 v[94:95], s[16:17], v[154:155]
	v_fma_f64 v[100:101], v[158:159], s[20:21], -v[98:99]
	s_mov_b32 s29, 0x3fb79ee6
	v_mul_f64 v[102:103], v[194:195], s[56:57]
	v_add_f64 v[166:167], v[34:35], v[30:31]
	v_add_f64 v[196:197], v[34:35], -v[30:31]
	v_add_f64 v[74:75], v[94:95], v[74:75]
	v_fmac_f64_e32 v[96:97], s[18:19], v[156:157]
	v_add_f64 v[100:101], v[100:101], v[70:71]
	v_fma_f64 v[70:71], s[28:29], v[166:167], v[102:103]
	v_add_f64 v[162:163], v[32:33], v[28:29]
	v_mul_f64 v[104:105], v[196:197], s[56:57]
	v_add_f64 v[74:75], v[96:97], v[74:75]
	v_fmac_f64_e32 v[98:99], s[20:21], v[158:159]
	v_add_f64 v[70:71], v[70:71], v[68:69]
	v_fma_f64 v[68:69], v[162:163], s[28:29], -v[104:105]
	v_add_f64 v[76:77], v[98:99], v[74:75]
	v_fma_f64 v[74:75], v[166:167], s[28:29], -v[102:103]
	v_fmac_f64_e32 v[104:105], s[28:29], v[162:163]
	v_mul_f64 v[80:81], v[170:171], s[24:25]
	v_add_f64 v[74:75], v[74:75], v[72:73]
	v_add_f64 v[72:73], v[104:105], v[76:77]
	v_fma_f64 v[76:77], s[14:15], v[146:147], v[80:81]
	v_mul_f64 v[82:83], v[168:169], s[38:39]
	s_mov_b32 s41, 0xbfefdd0d
	s_mov_b32 s40, s56
	v_add_f64 v[76:77], v[62:63], v[76:77]
	v_fma_f64 v[78:79], s[18:19], v[134:135], v[82:83]
	v_mul_f64 v[84:85], v[160:161], s[40:41]
	s_mov_b32 s53, 0x3fe9895b
	s_mov_b32 s52, s30
	;; [unrolled: 5-line block ×3, first 2 shown]
	v_add_f64 v[76:77], v[78:79], v[76:77]
	v_fma_f64 v[78:79], s[16:17], v[138:139], v[86:87]
	v_mul_f64 v[88:89], v[174:175], s[42:43]
	v_add_f64 v[76:77], v[78:79], v[76:77]
	v_fma_f64 v[78:79], s[22:23], v[140:141], v[88:89]
	v_mul_f64 v[90:91], v[176:177], s[26:27]
	;; [unrolled: 3-line block ×4, first 2 shown]
	v_add_f64 v[76:77], v[78:79], v[76:77]
	v_fma_f64 v[78:79], v[164:165], s[14:15], -v[94:95]
	v_mul_f64 v[96:97], v[186:187], s[38:39]
	v_fma_f64 v[80:81], v[146:147], s[14:15], -v[80:81]
	v_add_f64 v[78:79], v[60:61], v[78:79]
	v_fma_f64 v[98:99], v[148:149], s[18:19], -v[96:97]
	v_fma_f64 v[82:83], v[134:135], s[18:19], -v[82:83]
	v_add_f64 v[80:81], v[62:63], v[80:81]
	v_add_f64 v[78:79], v[98:99], v[78:79]
	v_mul_f64 v[98:99], v[182:183], s[40:41]
	v_add_f64 v[80:81], v[82:83], v[80:81]
	v_fma_f64 v[82:83], v[136:137], s[28:29], -v[84:85]
	v_add_f64 v[68:69], v[68:69], v[100:101]
	v_fma_f64 v[100:101], v[150:151], s[28:29], -v[98:99]
	;; [unrolled: 2-line block ×3, first 2 shown]
	v_add_f64 v[78:79], v[100:101], v[78:79]
	v_mul_f64 v[100:101], v[184:185], s[52:53]
	v_add_f64 v[80:81], v[82:83], v[80:81]
	v_fma_f64 v[82:83], v[140:141], s[22:23], -v[88:89]
	v_fma_f64 v[102:103], v[152:153], s[16:17], -v[100:101]
	v_add_f64 v[80:81], v[82:83], v[80:81]
	v_fma_f64 v[82:83], v[142:143], s[10:11], -v[90:91]
	v_add_f64 v[78:79], v[102:103], v[78:79]
	v_mul_f64 v[102:103], v[188:189], s[42:43]
	v_add_f64 v[80:81], v[82:83], v[80:81]
	v_fma_f64 v[82:83], v[144:145], s[12:13], -v[92:93]
	v_fmac_f64_e32 v[94:95], s[14:15], v[164:165]
	v_fma_f64 v[104:105], v[154:155], s[22:23], -v[102:103]
	v_add_f64 v[80:81], v[82:83], v[80:81]
	v_fmac_f64_e32 v[96:97], s[18:19], v[148:149]
	v_add_f64 v[82:83], v[60:61], v[94:95]
	v_add_f64 v[78:79], v[104:105], v[78:79]
	v_mul_f64 v[104:105], v[190:191], s[26:27]
	v_add_f64 v[82:83], v[96:97], v[82:83]
	v_fmac_f64_e32 v[98:99], s[28:29], v[150:151]
	v_fma_f64 v[106:107], v[156:157], s[10:11], -v[104:105]
	v_add_f64 v[82:83], v[98:99], v[82:83]
	v_fmac_f64_e32 v[100:101], s[16:17], v[152:153]
	v_add_f64 v[78:79], v[106:107], v[78:79]
	v_mul_f64 v[106:107], v[192:193], s[44:45]
	v_add_f64 v[82:83], v[100:101], v[82:83]
	v_fmac_f64_e32 v[102:103], s[22:23], v[154:155]
	v_fma_f64 v[108:109], v[158:159], s[12:13], -v[106:107]
	v_mul_f64 v[110:111], v[194:195], s[34:35]
	v_add_f64 v[82:83], v[102:103], v[82:83]
	v_fmac_f64_e32 v[104:105], s[10:11], v[156:157]
	v_add_f64 v[108:109], v[108:109], v[78:79]
	v_fma_f64 v[78:79], s[20:21], v[166:167], v[110:111]
	v_mul_f64 v[112:113], v[196:197], s[34:35]
	v_add_f64 v[82:83], v[104:105], v[82:83]
	v_fmac_f64_e32 v[106:107], s[12:13], v[158:159]
	v_add_f64 v[78:79], v[78:79], v[76:77]
	v_fma_f64 v[76:77], v[162:163], s[20:21], -v[112:113]
	v_add_f64 v[84:85], v[106:107], v[82:83]
	v_fma_f64 v[82:83], v[166:167], s[20:21], -v[110:111]
	v_fmac_f64_e32 v[112:113], s[20:21], v[162:163]
	s_mov_b32 s49, 0x3feec746
	s_mov_b32 s48, s34
	v_mul_f64 v[88:89], v[170:171], s[30:31]
	v_add_f64 v[82:83], v[82:83], v[80:81]
	v_add_f64 v[80:81], v[112:113], v[84:85]
	v_fma_f64 v[84:85], s[16:17], v[146:147], v[88:89]
	v_mul_f64 v[90:91], v[168:169], s[48:49]
	v_add_f64 v[84:85], v[62:63], v[84:85]
	v_fma_f64 v[86:87], s[20:21], v[134:135], v[90:91]
	v_mul_f64 v[92:93], v[160:161], s[42:43]
	;; [unrolled: 3-line block ×4, first 2 shown]
	s_mov_b32 s47, 0xbfe58eea
	s_mov_b32 s46, s44
	v_add_f64 v[84:85], v[86:87], v[84:85]
	v_fma_f64 v[86:87], s[28:29], v[140:141], v[96:97]
	v_mul_f64 v[98:99], v[176:177], s[46:47]
	v_add_f64 v[84:85], v[86:87], v[84:85]
	v_fma_f64 v[86:87], s[12:13], v[142:143], v[98:99]
	v_mul_f64 v[100:101], v[178:179], s[26:27]
	v_add_f64 v[84:85], v[86:87], v[84:85]
	v_fma_f64 v[86:87], s[10:11], v[144:145], v[100:101]
	v_mul_f64 v[102:103], v[180:181], s[30:31]
	v_add_f64 v[84:85], v[86:87], v[84:85]
	v_fma_f64 v[86:87], v[164:165], s[16:17], -v[102:103]
	v_mul_f64 v[104:105], v[186:187], s[48:49]
	v_fma_f64 v[88:89], v[146:147], s[16:17], -v[88:89]
	v_add_f64 v[86:87], v[60:61], v[86:87]
	v_fma_f64 v[106:107], v[148:149], s[20:21], -v[104:105]
	v_fma_f64 v[90:91], v[134:135], s[20:21], -v[90:91]
	v_add_f64 v[88:89], v[62:63], v[88:89]
	v_add_f64 v[86:87], v[106:107], v[86:87]
	v_mul_f64 v[106:107], v[182:183], s[42:43]
	v_add_f64 v[88:89], v[90:91], v[88:89]
	v_fma_f64 v[90:91], v[136:137], s[22:23], -v[92:93]
	v_add_f64 v[76:77], v[76:77], v[108:109]
	v_fma_f64 v[108:109], v[150:151], s[22:23], -v[106:107]
	;; [unrolled: 2-line block ×3, first 2 shown]
	v_add_f64 v[86:87], v[108:109], v[86:87]
	v_mul_f64 v[108:109], v[184:185], s[24:25]
	v_add_f64 v[88:89], v[90:91], v[88:89]
	v_fma_f64 v[90:91], v[140:141], s[28:29], -v[96:97]
	v_fma_f64 v[110:111], v[152:153], s[14:15], -v[108:109]
	v_add_f64 v[88:89], v[90:91], v[88:89]
	v_fma_f64 v[90:91], v[142:143], s[12:13], -v[98:99]
	v_add_f64 v[86:87], v[110:111], v[86:87]
	v_mul_f64 v[110:111], v[188:189], s[56:57]
	v_add_f64 v[88:89], v[90:91], v[88:89]
	v_fma_f64 v[90:91], v[144:145], s[10:11], -v[100:101]
	v_fmac_f64_e32 v[102:103], s[16:17], v[164:165]
	v_fma_f64 v[112:113], v[154:155], s[28:29], -v[110:111]
	v_add_f64 v[88:89], v[90:91], v[88:89]
	v_fmac_f64_e32 v[104:105], s[20:21], v[148:149]
	v_add_f64 v[90:91], v[60:61], v[102:103]
	v_add_f64 v[86:87], v[112:113], v[86:87]
	v_mul_f64 v[112:113], v[190:191], s[46:47]
	v_add_f64 v[90:91], v[104:105], v[90:91]
	v_fmac_f64_e32 v[106:107], s[22:23], v[150:151]
	v_fma_f64 v[114:115], v[156:157], s[12:13], -v[112:113]
	v_add_f64 v[90:91], v[106:107], v[90:91]
	v_fmac_f64_e32 v[108:109], s[14:15], v[152:153]
	v_add_f64 v[86:87], v[114:115], v[86:87]
	v_mul_f64 v[114:115], v[192:193], s[26:27]
	v_add_f64 v[90:91], v[108:109], v[90:91]
	v_fmac_f64_e32 v[110:111], s[28:29], v[154:155]
	v_fma_f64 v[116:117], v[158:159], s[10:11], -v[114:115]
	v_mul_f64 v[118:119], v[194:195], s[38:39]
	v_add_f64 v[90:91], v[110:111], v[90:91]
	v_fmac_f64_e32 v[112:113], s[12:13], v[156:157]
	v_add_f64 v[116:117], v[116:117], v[86:87]
	v_fma_f64 v[86:87], s[18:19], v[166:167], v[118:119]
	v_mul_f64 v[200:201], v[196:197], s[38:39]
	v_add_f64 v[90:91], v[112:113], v[90:91]
	v_fmac_f64_e32 v[114:115], s[10:11], v[158:159]
	v_add_f64 v[86:87], v[86:87], v[84:85]
	v_fma_f64 v[84:85], v[162:163], s[18:19], -v[200:201]
	v_add_f64 v[92:93], v[114:115], v[90:91]
	v_fma_f64 v[90:91], v[166:167], s[18:19], -v[118:119]
	v_fmac_f64_e32 v[200:201], s[18:19], v[162:163]
	s_mov_b32 s55, 0x3fe0d888
	s_mov_b32 s54, s24
	v_mul_f64 v[96:97], v[170:171], s[34:35]
	v_add_f64 v[90:91], v[90:91], v[88:89]
	v_add_f64 v[88:89], v[200:201], v[92:93]
	v_fma_f64 v[92:93], s[20:21], v[146:147], v[96:97]
	v_mul_f64 v[98:99], v[168:169], s[54:55]
	v_add_f64 v[92:93], v[62:63], v[92:93]
	v_fma_f64 v[94:95], s[14:15], v[134:135], v[98:99]
	v_mul_f64 v[100:101], v[160:161], s[44:45]
	s_mov_b32 s51, 0xbfeca52d
	s_mov_b32 s50, s38
	v_add_f64 v[92:93], v[94:95], v[92:93]
	v_fma_f64 v[94:95], s[12:13], v[136:137], v[100:101]
	v_mul_f64 v[102:103], v[172:173], s[50:51]
	v_add_f64 v[92:93], v[94:95], v[92:93]
	v_fma_f64 v[94:95], s[18:19], v[138:139], v[102:103]
	v_mul_f64 v[104:105], v[174:175], s[26:27]
	;; [unrolled: 3-line block ×5, first 2 shown]
	v_add_f64 v[92:93], v[94:95], v[92:93]
	v_fma_f64 v[94:95], v[164:165], s[20:21], -v[110:111]
	v_mul_f64 v[112:113], v[186:187], s[54:55]
	v_fma_f64 v[96:97], v[146:147], s[20:21], -v[96:97]
	v_add_f64 v[94:95], v[60:61], v[94:95]
	v_fma_f64 v[114:115], v[148:149], s[14:15], -v[112:113]
	v_fma_f64 v[98:99], v[134:135], s[14:15], -v[98:99]
	v_add_f64 v[96:97], v[62:63], v[96:97]
	v_add_f64 v[94:95], v[114:115], v[94:95]
	v_mul_f64 v[114:115], v[182:183], s[44:45]
	v_add_f64 v[96:97], v[98:99], v[96:97]
	v_fma_f64 v[98:99], v[136:137], s[12:13], -v[100:101]
	v_add_f64 v[84:85], v[84:85], v[116:117]
	v_fma_f64 v[116:117], v[150:151], s[12:13], -v[114:115]
	v_add_f64 v[96:97], v[98:99], v[96:97]
	v_fma_f64 v[98:99], v[138:139], s[18:19], -v[102:103]
	v_add_f64 v[94:95], v[116:117], v[94:95]
	v_mul_f64 v[116:117], v[184:185], s[50:51]
	v_add_f64 v[96:97], v[98:99], v[96:97]
	v_fma_f64 v[98:99], v[140:141], s[10:11], -v[104:105]
	v_fma_f64 v[118:119], v[152:153], s[18:19], -v[116:117]
	v_add_f64 v[96:97], v[98:99], v[96:97]
	v_fma_f64 v[98:99], v[142:143], s[28:29], -v[106:107]
	v_add_f64 v[94:95], v[118:119], v[94:95]
	v_mul_f64 v[118:119], v[188:189], s[26:27]
	v_add_f64 v[96:97], v[98:99], v[96:97]
	v_fma_f64 v[98:99], v[144:145], s[22:23], -v[108:109]
	v_fmac_f64_e32 v[110:111], s[20:21], v[164:165]
	v_fma_f64 v[200:201], v[154:155], s[10:11], -v[118:119]
	v_add_f64 v[96:97], v[98:99], v[96:97]
	v_fmac_f64_e32 v[112:113], s[14:15], v[148:149]
	v_add_f64 v[98:99], v[60:61], v[110:111]
	v_add_f64 v[94:95], v[200:201], v[94:95]
	v_mul_f64 v[200:201], v[190:191], s[56:57]
	v_add_f64 v[98:99], v[112:113], v[98:99]
	v_fmac_f64_e32 v[114:115], s[12:13], v[150:151]
	v_fma_f64 v[202:203], v[156:157], s[28:29], -v[200:201]
	v_add_f64 v[98:99], v[114:115], v[98:99]
	v_fmac_f64_e32 v[116:117], s[18:19], v[152:153]
	v_add_f64 v[94:95], v[202:203], v[94:95]
	v_mul_f64 v[202:203], v[192:193], s[42:43]
	v_add_f64 v[98:99], v[116:117], v[98:99]
	v_fmac_f64_e32 v[118:119], s[10:11], v[154:155]
	v_fma_f64 v[204:205], v[158:159], s[22:23], -v[202:203]
	v_mul_f64 v[206:207], v[194:195], s[30:31]
	v_add_f64 v[98:99], v[118:119], v[98:99]
	v_fmac_f64_e32 v[200:201], s[28:29], v[156:157]
	v_add_f64 v[204:205], v[204:205], v[94:95]
	v_fma_f64 v[94:95], s[16:17], v[166:167], v[206:207]
	v_mul_f64 v[208:209], v[196:197], s[30:31]
	v_add_f64 v[98:99], v[200:201], v[98:99]
	v_fmac_f64_e32 v[202:203], s[22:23], v[158:159]
	v_add_f64 v[94:95], v[94:95], v[92:93]
	v_fma_f64 v[92:93], v[162:163], s[16:17], -v[208:209]
	v_add_f64 v[100:101], v[202:203], v[98:99]
	v_fma_f64 v[98:99], v[166:167], s[16:17], -v[206:207]
	v_fmac_f64_e32 v[208:209], s[16:17], v[162:163]
	v_mul_f64 v[104:105], v[170:171], s[40:41]
	v_add_f64 v[98:99], v[98:99], v[96:97]
	v_add_f64 v[96:97], v[208:209], v[100:101]
	v_fma_f64 v[100:101], s[28:29], v[146:147], v[104:105]
	v_mul_f64 v[106:107], v[168:169], s[26:27]
	v_add_f64 v[100:101], v[62:63], v[100:101]
	v_fma_f64 v[102:103], s[10:11], v[134:135], v[106:107]
	v_mul_f64 v[108:109], v[160:161], s[48:49]
	;; [unrolled: 3-line block ×7, first 2 shown]
	v_add_f64 v[100:101], v[102:103], v[100:101]
	v_fma_f64 v[102:103], v[164:165], s[28:29], -v[118:119]
	v_mul_f64 v[200:201], v[186:187], s[26:27]
	v_fma_f64 v[104:105], v[146:147], s[28:29], -v[104:105]
	v_add_f64 v[102:103], v[60:61], v[102:103]
	v_fma_f64 v[202:203], v[148:149], s[10:11], -v[200:201]
	v_fma_f64 v[106:107], v[134:135], s[10:11], -v[106:107]
	v_add_f64 v[104:105], v[62:63], v[104:105]
	v_add_f64 v[102:103], v[202:203], v[102:103]
	v_mul_f64 v[202:203], v[182:183], s[48:49]
	v_add_f64 v[104:105], v[106:107], v[104:105]
	v_fma_f64 v[106:107], v[136:137], s[20:21], -v[108:109]
	v_add_f64 v[92:93], v[92:93], v[204:205]
	v_fma_f64 v[204:205], v[150:151], s[20:21], -v[202:203]
	;; [unrolled: 2-line block ×3, first 2 shown]
	v_add_f64 v[102:103], v[204:205], v[102:103]
	v_mul_f64 v[204:205], v[184:185], s[36:37]
	v_add_f64 v[104:105], v[106:107], v[104:105]
	v_fma_f64 v[106:107], v[140:141], s[18:19], -v[112:113]
	v_fma_f64 v[206:207], v[152:153], s[22:23], -v[204:205]
	v_add_f64 v[104:105], v[106:107], v[104:105]
	v_fma_f64 v[106:107], v[142:143], s[14:15], -v[114:115]
	v_add_f64 v[102:103], v[206:207], v[102:103]
	v_mul_f64 v[206:207], v[188:189], s[50:51]
	v_add_f64 v[104:105], v[106:107], v[104:105]
	v_fma_f64 v[106:107], v[144:145], s[16:17], -v[116:117]
	v_fmac_f64_e32 v[118:119], s[28:29], v[164:165]
	v_fma_f64 v[208:209], v[154:155], s[18:19], -v[206:207]
	v_add_f64 v[104:105], v[106:107], v[104:105]
	v_fmac_f64_e32 v[200:201], s[10:11], v[148:149]
	v_add_f64 v[106:107], v[60:61], v[118:119]
	v_add_f64 v[102:103], v[208:209], v[102:103]
	v_mul_f64 v[208:209], v[190:191], s[24:25]
	v_add_f64 v[106:107], v[200:201], v[106:107]
	v_fmac_f64_e32 v[202:203], s[20:21], v[150:151]
	v_fma_f64 v[210:211], v[156:157], s[14:15], -v[208:209]
	v_add_f64 v[106:107], v[202:203], v[106:107]
	v_fmac_f64_e32 v[204:205], s[22:23], v[152:153]
	v_add_f64 v[102:103], v[210:211], v[102:103]
	v_mul_f64 v[210:211], v[192:193], s[52:53]
	v_add_f64 v[106:107], v[204:205], v[106:107]
	v_fmac_f64_e32 v[206:207], s[18:19], v[154:155]
	v_fma_f64 v[212:213], v[158:159], s[16:17], -v[210:211]
	v_mul_f64 v[214:215], v[194:195], s[44:45]
	v_add_f64 v[106:107], v[206:207], v[106:107]
	v_fmac_f64_e32 v[208:209], s[14:15], v[156:157]
	v_add_f64 v[212:213], v[212:213], v[102:103]
	v_fma_f64 v[102:103], s[12:13], v[166:167], v[214:215]
	v_mul_f64 v[216:217], v[196:197], s[44:45]
	v_add_f64 v[106:107], v[208:209], v[106:107]
	v_fmac_f64_e32 v[210:211], s[16:17], v[158:159]
	v_add_f64 v[102:103], v[102:103], v[100:101]
	v_fma_f64 v[100:101], v[162:163], s[12:13], -v[216:217]
	v_add_f64 v[108:109], v[210:211], v[106:107]
	v_fma_f64 v[106:107], v[166:167], s[12:13], -v[214:215]
	v_fmac_f64_e32 v[216:217], s[12:13], v[162:163]
	v_mul_f64 v[112:113], v[170:171], s[50:51]
	v_add_f64 v[106:107], v[106:107], v[104:105]
	v_add_f64 v[104:105], v[216:217], v[108:109]
	v_fma_f64 v[108:109], s[18:19], v[146:147], v[112:113]
	v_mul_f64 v[114:115], v[168:169], s[30:31]
	s_mov_b32 s53, 0x3fc7851a
	s_mov_b32 s52, s26
	v_add_f64 v[108:109], v[62:63], v[108:109]
	v_fma_f64 v[110:111], s[16:17], v[134:135], v[114:115]
	v_mul_f64 v[116:117], v[160:161], s[52:53]
	v_add_f64 v[108:109], v[110:111], v[108:109]
	v_fma_f64 v[110:111], s[10:11], v[136:137], v[116:117]
	v_mul_f64 v[118:119], v[172:173], s[48:49]
	;; [unrolled: 3-line block ×6, first 2 shown]
	v_add_f64 v[108:109], v[110:111], v[108:109]
	v_fma_f64 v[110:111], v[164:165], s[18:19], -v[206:207]
	v_mul_f64 v[208:209], v[186:187], s[30:31]
	v_fma_f64 v[112:113], v[146:147], s[18:19], -v[112:113]
	v_add_f64 v[110:111], v[60:61], v[110:111]
	v_fma_f64 v[210:211], v[148:149], s[16:17], -v[208:209]
	v_fma_f64 v[114:115], v[134:135], s[16:17], -v[114:115]
	v_add_f64 v[112:113], v[62:63], v[112:113]
	v_add_f64 v[110:111], v[210:211], v[110:111]
	v_mul_f64 v[210:211], v[182:183], s[52:53]
	v_add_f64 v[112:113], v[114:115], v[112:113]
	v_fma_f64 v[114:115], v[136:137], s[10:11], -v[116:117]
	v_add_f64 v[100:101], v[100:101], v[212:213]
	v_fma_f64 v[212:213], v[150:151], s[10:11], -v[210:211]
	;; [unrolled: 2-line block ×3, first 2 shown]
	v_add_f64 v[110:111], v[212:213], v[110:111]
	v_mul_f64 v[212:213], v[184:185], s[48:49]
	v_add_f64 v[112:113], v[114:115], v[112:113]
	v_fma_f64 v[114:115], v[140:141], s[12:13], -v[200:201]
	v_fma_f64 v[214:215], v[152:153], s[20:21], -v[212:213]
	v_add_f64 v[112:113], v[114:115], v[112:113]
	v_fma_f64 v[114:115], v[142:143], s[22:23], -v[202:203]
	v_add_f64 v[110:111], v[214:215], v[110:111]
	v_mul_f64 v[214:215], v[188:189], s[44:45]
	v_add_f64 v[112:113], v[114:115], v[112:113]
	v_fma_f64 v[114:115], v[144:145], s[28:29], -v[204:205]
	v_fmac_f64_e32 v[206:207], s[18:19], v[164:165]
	v_fma_f64 v[216:217], v[154:155], s[12:13], -v[214:215]
	v_add_f64 v[112:113], v[114:115], v[112:113]
	v_fmac_f64_e32 v[208:209], s[16:17], v[148:149]
	v_add_f64 v[114:115], v[60:61], v[206:207]
	v_add_f64 v[110:111], v[216:217], v[110:111]
	v_mul_f64 v[216:217], v[190:191], s[42:43]
	v_add_f64 v[114:115], v[208:209], v[114:115]
	v_fmac_f64_e32 v[210:211], s[10:11], v[150:151]
	v_fma_f64 v[218:219], v[156:157], s[22:23], -v[216:217]
	v_add_f64 v[114:115], v[210:211], v[114:115]
	v_fmac_f64_e32 v[212:213], s[20:21], v[152:153]
	v_add_f64 v[110:111], v[218:219], v[110:111]
	v_mul_f64 v[218:219], v[192:193], s[40:41]
	v_add_f64 v[114:115], v[212:213], v[114:115]
	v_fmac_f64_e32 v[214:215], s[12:13], v[154:155]
	v_fma_f64 v[220:221], v[158:159], s[28:29], -v[218:219]
	v_mul_f64 v[222:223], v[194:195], s[24:25]
	v_add_f64 v[114:115], v[214:215], v[114:115]
	v_fmac_f64_e32 v[216:217], s[22:23], v[156:157]
	v_add_f64 v[220:221], v[220:221], v[110:111]
	v_fma_f64 v[110:111], s[14:15], v[166:167], v[222:223]
	v_mul_f64 v[224:225], v[196:197], s[24:25]
	v_add_f64 v[114:115], v[216:217], v[114:115]
	v_fmac_f64_e32 v[218:219], s[28:29], v[158:159]
	v_add_f64 v[110:111], v[110:111], v[108:109]
	v_fma_f64 v[108:109], v[162:163], s[14:15], -v[224:225]
	v_add_f64 v[116:117], v[218:219], v[114:115]
	v_fma_f64 v[114:115], v[166:167], s[14:15], -v[222:223]
	v_fmac_f64_e32 v[224:225], s[14:15], v[162:163]
	v_mul_f64 v[200:201], v[170:171], s[46:47]
	v_add_f64 v[114:115], v[114:115], v[112:113]
	v_add_f64 v[112:113], v[224:225], v[116:117]
	v_fma_f64 v[116:117], s[12:13], v[146:147], v[200:201]
	v_mul_f64 v[202:203], v[168:169], s[40:41]
	v_add_f64 v[116:117], v[62:63], v[116:117]
	v_fma_f64 v[118:119], s[28:29], v[134:135], v[202:203]
	v_mul_f64 v[204:205], v[160:161], s[30:31]
	;; [unrolled: 3-line block ×7, first 2 shown]
	v_add_f64 v[116:117], v[118:119], v[116:117]
	v_fma_f64 v[118:119], v[164:165], s[12:13], -v[214:215]
	v_mul_f64 v[216:217], v[186:187], s[40:41]
	v_fma_f64 v[200:201], v[146:147], s[12:13], -v[200:201]
	v_add_f64 v[118:119], v[60:61], v[118:119]
	v_fma_f64 v[218:219], v[148:149], s[28:29], -v[216:217]
	v_fma_f64 v[202:203], v[134:135], s[28:29], -v[202:203]
	v_add_f64 v[200:201], v[62:63], v[200:201]
	v_add_f64 v[118:119], v[218:219], v[118:119]
	v_mul_f64 v[218:219], v[182:183], s[30:31]
	v_add_f64 v[200:201], v[202:203], v[200:201]
	v_fma_f64 v[202:203], v[136:137], s[16:17], -v[204:205]
	v_add_f64 v[108:109], v[108:109], v[220:221]
	v_fma_f64 v[220:221], v[150:151], s[16:17], -v[218:219]
	;; [unrolled: 2-line block ×3, first 2 shown]
	v_add_f64 v[118:119], v[220:221], v[118:119]
	v_mul_f64 v[220:221], v[184:185], s[26:27]
	v_add_f64 v[200:201], v[202:203], v[200:201]
	v_fma_f64 v[202:203], v[140:141], s[14:15], -v[208:209]
	v_fma_f64 v[222:223], v[152:153], s[10:11], -v[220:221]
	v_add_f64 v[200:201], v[202:203], v[200:201]
	v_fma_f64 v[202:203], v[142:143], s[20:21], -v[210:211]
	v_add_f64 v[118:119], v[222:223], v[118:119]
	v_mul_f64 v[222:223], v[188:189], s[54:55]
	v_add_f64 v[200:201], v[202:203], v[200:201]
	v_fma_f64 v[202:203], v[144:145], s[18:19], -v[212:213]
	v_fmac_f64_e32 v[214:215], s[12:13], v[164:165]
	v_fma_f64 v[224:225], v[154:155], s[14:15], -v[222:223]
	v_add_f64 v[200:201], v[202:203], v[200:201]
	v_fmac_f64_e32 v[216:217], s[28:29], v[148:149]
	v_add_f64 v[202:203], v[60:61], v[214:215]
	v_add_f64 v[118:119], v[224:225], v[118:119]
	v_mul_f64 v[224:225], v[190:191], s[48:49]
	v_add_f64 v[202:203], v[216:217], v[202:203]
	v_fmac_f64_e32 v[218:219], s[16:17], v[150:151]
	v_fma_f64 v[226:227], v[156:157], s[20:21], -v[224:225]
	v_add_f64 v[202:203], v[218:219], v[202:203]
	v_fmac_f64_e32 v[220:221], s[10:11], v[152:153]
	v_add_f64 v[118:119], v[226:227], v[118:119]
	v_mul_f64 v[226:227], v[192:193], s[38:39]
	v_add_f64 v[202:203], v[220:221], v[202:203]
	v_fmac_f64_e32 v[222:223], s[14:15], v[154:155]
	v_fma_f64 v[228:229], v[158:159], s[18:19], -v[226:227]
	v_mul_f64 v[230:231], v[194:195], s[36:37]
	v_add_f64 v[202:203], v[222:223], v[202:203]
	v_fmac_f64_e32 v[224:225], s[20:21], v[156:157]
	v_add_f64 v[228:229], v[228:229], v[118:119]
	v_fma_f64 v[118:119], s[22:23], v[166:167], v[230:231]
	v_mul_f64 v[232:233], v[196:197], s[36:37]
	v_add_f64 v[202:203], v[224:225], v[202:203]
	v_fmac_f64_e32 v[226:227], s[18:19], v[158:159]
	v_add_f64 v[66:67], v[62:63], v[66:67]
	v_add_f64 v[118:119], v[118:119], v[116:117]
	v_fma_f64 v[116:117], v[162:163], s[22:23], -v[232:233]
	v_add_f64 v[204:205], v[226:227], v[202:203]
	v_fma_f64 v[202:203], v[166:167], s[22:23], -v[230:231]
	v_fmac_f64_e32 v[232:233], s[22:23], v[162:163]
	v_mul_f64 v[206:207], v[170:171], s[42:43]
	v_add_f64 v[58:59], v[66:67], v[58:59]
	v_add_f64 v[202:203], v[202:203], v[200:201]
	;; [unrolled: 1-line block ×3, first 2 shown]
	v_mul_f64 v[204:205], v[168:169], s[46:47]
	v_fma_f64 v[168:169], s[22:23], v[146:147], v[206:207]
	v_add_f64 v[64:65], v[60:61], v[64:65]
	v_add_f64 v[54:55], v[58:59], v[54:55]
	v_add_f64 v[168:169], v[62:63], v[168:169]
	v_fma_f64 v[170:171], s[12:13], v[134:135], v[204:205]
	v_mul_f64 v[160:161], v[160:161], s[50:51]
	v_add_f64 v[56:57], v[64:65], v[56:57]
	v_add_f64 v[50:51], v[54:55], v[50:51]
	v_add_f64 v[168:169], v[170:171], v[168:169]
	v_fma_f64 v[170:171], s[18:19], v[136:137], v[160:161]
	v_mul_f64 v[172:173], v[172:173], s[40:41]
	;; [unrolled: 5-line block ×6, first 2 shown]
	v_add_f64 v[36:37], v[40:41], v[36:37]
	v_add_f64 v[30:31], v[34:35], v[30:31]
	;; [unrolled: 1-line block ×3, first 2 shown]
	v_mul_f64 v[186:187], v[186:187], s[46:47]
	v_fma_f64 v[170:171], v[164:165], s[22:23], -v[180:181]
	v_add_f64 v[32:33], v[36:37], v[32:33]
	v_add_f64 v[26:27], v[30:31], v[26:27]
	;; [unrolled: 1-line block ×3, first 2 shown]
	v_fma_f64 v[208:209], v[148:149], s[12:13], -v[186:187]
	v_mul_f64 v[182:183], v[182:183], s[50:51]
	v_fma_f64 v[146:147], v[146:147], s[22:23], -v[206:207]
	v_fmac_f64_e32 v[180:181], s[22:23], v[164:165]
	v_add_f64 v[28:29], v[32:33], v[28:29]
	v_add_f64 v[22:23], v[26:27], v[22:23]
	;; [unrolled: 1-line block ×3, first 2 shown]
	v_fma_f64 v[208:209], v[150:151], s[18:19], -v[182:183]
	v_mul_f64 v[184:185], v[184:185], s[40:41]
	v_add_f64 v[62:63], v[62:63], v[146:147]
	v_add_f64 v[60:61], v[60:61], v[180:181]
	v_fma_f64 v[134:135], v[134:135], s[12:13], -v[204:205]
	v_fmac_f64_e32 v[186:187], s[12:13], v[148:149]
	v_add_f64 v[24:25], v[28:29], v[24:25]
	v_add_f64 v[18:19], v[22:23], v[18:19]
	v_add_f64 v[170:171], v[208:209], v[170:171]
	v_fma_f64 v[208:209], v[152:153], s[28:29], -v[184:185]
	v_mul_f64 v[188:189], v[188:189], s[34:35]
	v_fma_f64 v[136:137], v[136:137], s[18:19], -v[160:161]
	v_add_f64 v[62:63], v[134:135], v[62:63]
	v_fmac_f64_e32 v[182:183], s[18:19], v[150:151]
	v_add_f64 v[60:61], v[186:187], v[60:61]
	v_add_f64 v[20:21], v[24:25], v[20:21]
	v_add_f64 v[2:3], v[18:19], v[2:3]
	v_add_f64 v[170:171], v[208:209], v[170:171]
	v_fma_f64 v[208:209], v[154:155], s[20:21], -v[188:189]
	v_mul_f64 v[190:191], v[190:191], s[30:31]
	v_fma_f64 v[138:139], v[138:139], s[28:29], -v[172:173]
	v_add_f64 v[62:63], v[136:137], v[62:63]
	v_fmac_f64_e32 v[184:185], s[28:29], v[152:153]
	v_add_f64 v[60:61], v[182:183], v[60:61]
	;; [unrolled: 9-line block ×3, first 2 shown]
	v_add_f64 v[0:1], v[6:7], v[0:1]
	v_add_f64 v[170:171], v[208:209], v[170:171]
	v_fma_f64 v[208:209], v[158:159], s[14:15], -v[192:193]
	v_mul_f64 v[194:195], v[194:195], s[26:27]
	v_fma_f64 v[142:143], v[142:143], s[16:17], -v[176:177]
	v_add_f64 v[62:63], v[140:141], v[62:63]
	v_fmac_f64_e32 v[190:191], s[16:17], v[156:157]
	v_add_f64 v[60:61], v[188:189], v[60:61]
	v_add_f64 v[0:1], v[0:1], v[4:5]
	;; [unrolled: 1-line block ×3, first 2 shown]
	v_fma_f64 v[170:171], s[10:11], v[166:167], v[194:195]
	v_mul_f64 v[196:197], v[196:197], s[26:27]
	v_fma_f64 v[144:145], v[144:145], s[14:15], -v[178:179]
	v_add_f64 v[62:63], v[142:143], v[62:63]
	v_fmac_f64_e32 v[192:193], s[14:15], v[158:159]
	v_add_f64 v[60:61], v[190:191], v[60:61]
	v_add_f64 v[2:3], v[2:3], v[10:11]
	;; [unrolled: 1-line block ×4, first 2 shown]
	v_fma_f64 v[168:169], v[162:163], s[10:11], -v[196:197]
	v_fma_f64 v[146:147], v[166:167], s[10:11], -v[194:195]
	v_add_f64 v[62:63], v[144:145], v[62:63]
	v_fmac_f64_e32 v[196:197], s[10:11], v[162:163]
	v_add_f64 v[60:61], v[192:193], v[60:61]
	v_add_f64 v[2:3], v[2:3], v[14:15]
	;; [unrolled: 1-line block ×3, first 2 shown]
	v_lshl_add_u32 v4, v124, 8, v198
	v_add_f64 v[116:117], v[116:117], v[228:229]
	v_add_f64 v[168:169], v[168:169], v[208:209]
	;; [unrolled: 1-line block ×4, first 2 shown]
	ds_write_b128 v4, v[0:3]
	ds_write_b128 v4, v[60:63] offset:16
	ds_write_b128 v4, v[200:203] offset:32
	;; [unrolled: 1-line block ×16, first 2 shown]
.LBB0_21:
	s_or_b64 exec, exec, s[4:5]
	s_movk_i32 s4, 0xf1
	v_mul_lo_u16_sdwa v9, v124, s4 dst_sel:DWORD dst_unused:UNUSED_PAD src0_sel:BYTE_0 src1_sel:DWORD
	v_lshrrev_b16_e32 v100, 12, v9
	v_mul_lo_u16_e32 v0, 17, v100
	v_sub_u16_e32 v0, v124, v0
	v_mov_b32_e32 v8, 4
	v_lshlrev_b32_sdwa v101, v8, v0 dst_sel:DWORD dst_unused:UNUSED_PAD src0_sel:DWORD src1_sel:BYTE_0
	v_add_u16_e32 v0, 0x77, v124
	v_mul_lo_u16_sdwa v1, v0, s4 dst_sel:DWORD dst_unused:UNUSED_PAD src0_sel:BYTE_0 src1_sel:DWORD
	s_mov_b32 s4, 0xf0f1
	v_mul_u32_u24_sdwa v6, v126, s4 dst_sel:DWORD dst_unused:UNUSED_PAD src0_sel:WORD_0 src1_sel:DWORD
	v_lshrrev_b32_e32 v104, 20, v6
	v_mul_lo_u16_e32 v6, 17, v104
	v_sub_u16_e32 v6, v126, v6
	v_lshlrev_b32_e32 v105, 4, v6
	v_mul_u32_u24_sdwa v6, v128, s4 dst_sel:DWORD dst_unused:UNUSED_PAD src0_sel:WORD_0 src1_sel:DWORD
	v_lshrrev_b32_e32 v106, 20, v6
	v_mul_lo_u16_e32 v6, 17, v106
	v_sub_u16_e32 v6, v128, v6
	v_lshlrev_b32_e32 v107, 4, v6
	;; [unrolled: 5-line block ×4, first 2 shown]
	v_add_u32_e32 v6, 0x2ca, v124
	v_mul_u32_u24_sdwa v7, v6, s4 dst_sel:DWORD dst_unused:UNUSED_PAD src0_sel:WORD_0 src1_sel:DWORD
	v_lshrrev_b32_e32 v112, 20, v7
	v_lshrrev_b16_e32 v102, 12, v1
	v_mul_lo_u16_e32 v7, 17, v112
	v_mul_lo_u16_e32 v2, 17, v102
	v_sub_u16_e32 v6, v6, v7
	v_sub_u16_e32 v2, v0, v2
	v_lshlrev_b32_e32 v113, 4, v6
	s_waitcnt lgkmcnt(0)
	s_barrier
	v_lshlrev_b32_sdwa v103, v8, v2 dst_sel:DWORD dst_unused:UNUSED_PAD src0_sel:DWORD src1_sel:BYTE_0
	global_load_dwordx4 v[2:5], v101, s[8:9]
	global_load_dwordx4 v[10:13], v103, s[8:9]
	;; [unrolled: 1-line block ×7, first 2 shown]
	ds_read_b128 v[34:37], v198 offset:13328
	ds_read_b128 v[38:41], v198
	ds_read_b128 v[42:45], v198 offset:1904
	ds_read_b128 v[46:49], v198 offset:15232
	;; [unrolled: 1-line block ×3, first 2 shown]
	ds_read_b128 v[54:57], v125
	ds_read_b128 v[58:61], v131
	ds_read_b128 v[62:65], v198 offset:19040
	ds_read_b128 v[66:69], v198 offset:20944
	ds_read_b128 v[70:73], v129
	ds_read_b128 v[74:77], v133
	ds_read_b128 v[78:81], v198 offset:11424
	ds_read_b128 v[82:85], v198 offset:22848
	;; [unrolled: 1-line block ×3, first 2 shown]
	s_waitcnt lgkmcnt(0)
	s_barrier
	s_mov_b32 s5, 0x5040100
	s_movk_i32 s4, 0x220
	v_lshrrev_b16_e32 v9, 13, v9
	s_mov_b32 s14, 0xe976ee23
	s_mov_b32 s10, 0x37e14327
	;; [unrolled: 1-line block ×18, first 2 shown]
	s_waitcnt vmcnt(6)
	v_mul_f64 v[6:7], v[36:37], v[4:5]
	v_mul_f64 v[4:5], v[34:35], v[4:5]
	s_waitcnt vmcnt(5)
	v_mul_f64 v[90:91], v[48:49], v[12:13]
	s_waitcnt vmcnt(3)
	v_mul_f64 v[94:95], v[64:65], v[20:21]
	v_mul_f64 v[20:21], v[62:63], v[20:21]
	v_fmac_f64_e32 v[6:7], v[34:35], v[2:3]
	v_fma_f64 v[4:5], v[36:37], v[2:3], -v[4:5]
	s_waitcnt vmcnt(2)
	v_mul_f64 v[2:3], v[86:87], v[32:33]
	v_mul_f64 v[12:13], v[46:47], v[12:13]
	v_fmac_f64_e32 v[90:91], v[46:47], v[10:11]
	v_fma_f64 v[46:47], v[64:65], v[18:19], -v[20:21]
	v_fma_f64 v[64:65], v[88:89], v[30:31], -v[2:3]
	v_add_f64 v[2:3], v[38:39], -v[6:7]
	v_add_f64 v[4:5], v[40:41], -v[4:5]
	v_mul_u32_u24_e32 v6, 0x220, v100
	v_mul_f64 v[92:93], v[52:53], v[16:17]
	v_mul_f64 v[16:17], v[50:51], v[16:17]
	v_fma_f64 v[34:35], v[48:49], v[10:11], -v[12:13]
	v_fma_f64 v[10:11], v[38:39], 2.0, -v[2:3]
	v_fma_f64 v[12:13], v[40:41], 2.0, -v[4:5]
	v_add3_u32 v6, 0, v6, v101
	v_fmac_f64_e32 v[92:93], v[50:51], v[14:15]
	v_fma_f64 v[36:37], v[52:53], v[14:15], -v[16:17]
	v_add_f64 v[14:15], v[42:43], -v[90:91]
	v_add_f64 v[16:17], v[44:45], -v[34:35]
	ds_write_b128 v6, v[10:13]
	ds_write_b128 v6, v[2:5] offset:272
	v_mul_u32_u24_e32 v2, 0x220, v102
	v_fmac_f64_e32 v[94:95], v[62:63], v[18:19]
	v_fma_f64 v[18:19], v[42:43], 2.0, -v[14:15]
	v_fma_f64 v[20:21], v[44:45], 2.0, -v[16:17]
	v_add3_u32 v2, 0, v2, v103
	ds_write_b128 v2, v[18:21]
	ds_write_b128 v2, v[14:17] offset:272
	v_perm_b32 v2, v106, v104, s5
	s_waitcnt vmcnt(1)
	v_mul_f64 v[96:97], v[68:69], v[24:25]
	v_mul_f64 v[24:25], v[66:67], v[24:25]
	;; [unrolled: 1-line block ×3, first 2 shown]
	v_pk_mul_lo_u16 v2, v2, s4 op_sel_hi:[1,0]
	s_waitcnt vmcnt(0)
	v_mul_f64 v[98:99], v[84:85], v[28:29]
	v_mul_f64 v[28:29], v[82:83], v[28:29]
	v_fmac_f64_e32 v[96:97], v[66:67], v[22:23]
	v_fma_f64 v[48:49], v[68:69], v[22:23], -v[24:25]
	v_fmac_f64_e32 v[62:63], v[86:87], v[30:31]
	v_add_f64 v[22:23], v[54:55], -v[92:93]
	v_add_f64 v[24:25], v[56:57], -v[36:37]
	;; [unrolled: 1-line block ×4, first 2 shown]
	v_and_b32_e32 v3, 0xffe0, v2
	v_lshrrev_b32_e32 v2, 16, v2
	v_fmac_f64_e32 v[98:99], v[82:83], v[26:27]
	v_fma_f64 v[50:51], v[84:85], v[26:27], -v[28:29]
	v_fma_f64 v[26:27], v[54:55], 2.0, -v[22:23]
	v_fma_f64 v[28:29], v[56:57], 2.0, -v[24:25]
	;; [unrolled: 1-line block ×4, first 2 shown]
	v_add3_u32 v3, 0, v3, v105
	v_add3_u32 v2, 0, v2, v107
	ds_write_b128 v3, v[26:29]
	ds_write_b128 v3, v[22:25] offset:272
	ds_write_b128 v2, v[34:37]
	ds_write_b128 v2, v[30:33] offset:272
	v_perm_b32 v2, v110, v108, s5
	v_pk_mul_lo_u16 v2, v2, s4 op_sel_hi:[1,0]
	v_add_f64 v[38:39], v[70:71], -v[96:97]
	v_add_f64 v[40:41], v[72:73], -v[48:49]
	;; [unrolled: 1-line block ×4, first 2 shown]
	v_and_b32_e32 v3, 0xffe0, v2
	v_lshrrev_b32_e32 v2, 16, v2
	v_fma_f64 v[42:43], v[70:71], 2.0, -v[38:39]
	v_fma_f64 v[44:45], v[72:73], 2.0, -v[40:41]
	;; [unrolled: 1-line block ×4, first 2 shown]
	v_add3_u32 v3, 0, v3, v109
	v_add3_u32 v2, 0, v2, v111
	v_add_f64 v[54:55], v[78:79], -v[62:63]
	v_add_f64 v[56:57], v[80:81], -v[64:65]
	ds_write_b128 v3, v[42:45]
	ds_write_b128 v3, v[38:41] offset:272
	ds_write_b128 v2, v[50:53]
	ds_write_b128 v2, v[46:49] offset:272
	v_mul_u32_u24_e32 v2, 0x220, v112
	v_fma_f64 v[58:59], v[78:79], 2.0, -v[54:55]
	v_fma_f64 v[60:61], v[80:81], 2.0, -v[56:57]
	v_add3_u32 v2, 0, v2, v113
	ds_write_b128 v2, v[58:61]
	ds_write_b128 v2, v[54:57] offset:272
	v_mul_lo_u16_e32 v2, 34, v9
	v_sub_u16_e32 v10, v124, v2
	v_mov_b32_e32 v2, 6
	v_mul_u32_u24_sdwa v3, v10, v2 dst_sel:DWORD dst_unused:UNUSED_PAD src0_sel:BYTE_0 src1_sel:DWORD
	v_lshlrev_b32_e32 v3, 4, v3
	s_waitcnt lgkmcnt(0)
	s_barrier
	global_load_dwordx4 v[4:7], v3, s[8:9] offset:272
	global_load_dwordx4 v[12:15], v3, s[8:9] offset:288
	;; [unrolled: 1-line block ×6, first 2 shown]
	v_lshrrev_b16_e32 v11, 13, v1
	v_mul_lo_u16_e32 v1, 34, v11
	v_sub_u16_e32 v110, v0, v1
	v_mul_u32_u24_sdwa v0, v110, v2 dst_sel:DWORD dst_unused:UNUSED_PAD src0_sel:BYTE_0 src1_sel:DWORD
	v_lshlrev_b32_e32 v0, 4, v0
	global_load_dwordx4 v[32:35], v0, s[8:9] offset:272
	global_load_dwordx4 v[36:39], v0, s[8:9] offset:288
	global_load_dwordx4 v[40:43], v0, s[8:9] offset:304
	global_load_dwordx4 v[44:47], v0, s[8:9] offset:320
	global_load_dwordx4 v[48:51], v0, s[8:9] offset:336
	global_load_dwordx4 v[52:55], v0, s[8:9] offset:352
	ds_read_b128 v[56:59], v125
	ds_read_b128 v[60:63], v129
	;; [unrolled: 1-line block ×3, first 2 shown]
	ds_read_b128 v[0:3], v198 offset:1904
	ds_read_b128 v[68:71], v198 offset:5712
	;; [unrolled: 1-line block ×11, first 2 shown]
	s_mov_b32 s4, 0x36b3c0b5
	s_mov_b32 s5, 0x3fac98ee
	v_mul_u32_u24_e32 v9, 0xee0, v9
	v_lshlrev_b32_sdwa v10, v8, v10 dst_sel:DWORD dst_unused:UNUSED_PAD src0_sel:DWORD src1_sel:BYTE_0
	v_add3_u32 v9, 0, v9, v10
	s_waitcnt lgkmcnt(0)
	s_barrier
	s_waitcnt vmcnt(11)
	v_mul_f64 v[108:109], v[58:59], v[6:7]
	v_mul_f64 v[6:7], v[56:57], v[6:7]
	v_fmac_f64_e32 v[108:109], v[56:57], v[4:5]
	v_fma_f64 v[4:5], v[58:59], v[4:5], -v[6:7]
	s_waitcnt vmcnt(10)
	v_mul_f64 v[6:7], v[62:63], v[14:15]
	v_mul_f64 v[14:15], v[60:61], v[14:15]
	v_fmac_f64_e32 v[6:7], v[60:61], v[12:13]
	v_fma_f64 v[12:13], v[62:63], v[12:13], -v[14:15]
	;; [unrolled: 5-line block ×6, first 2 shown]
	s_waitcnt vmcnt(5)
	v_mul_f64 v[30:31], v[68:69], v[34:35]
	v_fma_f64 v[58:59], v[70:71], v[32:33], -v[30:31]
	s_waitcnt vmcnt(4)
	v_mul_f64 v[60:61], v[74:75], v[38:39]
	v_mul_f64 v[30:31], v[72:73], v[38:39]
	v_fmac_f64_e32 v[60:61], v[72:73], v[36:37]
	v_fma_f64 v[36:37], v[74:75], v[36:37], -v[30:31]
	s_waitcnt vmcnt(3)
	v_mul_f64 v[38:39], v[82:83], v[42:43]
	v_mul_f64 v[30:31], v[80:81], v[42:43]
	v_fmac_f64_e32 v[38:39], v[80:81], v[40:41]
	;; [unrolled: 5-line block ×3, first 2 shown]
	v_fma_f64 v[44:45], v[90:91], v[44:45], -v[30:31]
	s_waitcnt vmcnt(1)
	v_mul_f64 v[46:47], v[98:99], v[50:51]
	v_mul_f64 v[30:31], v[96:97], v[50:51]
	;; [unrolled: 1-line block ×3, first 2 shown]
	v_fmac_f64_e32 v[46:47], v[96:97], v[48:49]
	v_fma_f64 v[48:49], v[98:99], v[48:49], -v[30:31]
	s_waitcnt vmcnt(0)
	v_mul_f64 v[50:51], v[106:107], v[54:55]
	v_mul_f64 v[30:31], v[104:105], v[54:55]
	v_fmac_f64_e32 v[56:57], v[68:69], v[32:33]
	v_fmac_f64_e32 v[50:51], v[104:105], v[52:53]
	v_fma_f64 v[52:53], v[106:107], v[52:53], -v[30:31]
	v_add_f64 v[30:31], v[108:109], v[26:27]
	v_add_f64 v[32:33], v[4:5], v[28:29]
	v_add_f64 v[4:5], v[4:5], -v[28:29]
	v_add_f64 v[28:29], v[6:7], v[22:23]
	v_add_f64 v[34:35], v[12:13], v[24:25]
	v_add_f64 v[6:7], v[6:7], -v[22:23]
	v_add_f64 v[12:13], v[12:13], -v[24:25]
	v_add_f64 v[22:23], v[14:15], v[18:19]
	v_add_f64 v[24:25], v[16:17], v[20:21]
	v_add_f64 v[14:15], v[18:19], -v[14:15]
	v_add_f64 v[16:17], v[20:21], -v[16:17]
	v_add_f64 v[18:19], v[28:29], v[30:31]
	v_add_f64 v[20:21], v[34:35], v[32:33]
	;; [unrolled: 1-line block ×4, first 2 shown]
	v_add_f64 v[26:27], v[108:109], -v[26:27]
	v_add_f64 v[62:63], v[34:35], -v[32:33]
	;; [unrolled: 1-line block ×4, first 2 shown]
	v_add_f64 v[68:69], v[14:15], v[6:7]
	v_add_f64 v[74:75], v[16:17], -v[12:13]
	v_add_f64 v[16:17], v[4:5], -v[16:17]
	;; [unrolled: 1-line block ×3, first 2 shown]
	v_add_f64 v[20:21], v[24:25], v[20:21]
	v_add_f64 v[24:25], v[70:71], v[4:5]
	;; [unrolled: 1-line block ×3, first 2 shown]
	v_add_f64 v[54:55], v[28:29], -v[30:31]
	v_add_f64 v[30:31], v[30:31], -v[22:23]
	;; [unrolled: 1-line block ×5, first 2 shown]
	v_add_f64 v[22:23], v[68:69], v[26:27]
	v_add_f64 v[6:7], v[66:67], v[20:21]
	v_mul_f64 v[68:69], v[74:75], s[14:15]
	v_mov_b64_e32 v[74:75], v[4:5]
	v_add_f64 v[14:15], v[26:27], -v[14:15]
	v_mul_f64 v[26:27], v[30:31], s[10:11]
	v_mul_f64 v[30:31], v[32:33], s[10:11]
	;; [unrolled: 1-line block ×6, first 2 shown]
	v_fmac_f64_e32 v[74:75], s[16:17], v[18:19]
	v_mov_b64_e32 v[18:19], v[6:7]
	v_mul_f64 v[72:73], v[12:13], s[12:13]
	v_fmac_f64_e32 v[18:19], s[16:17], v[20:21]
	v_fma_f64 v[20:21], v[54:55], s[18:19], -v[32:33]
	v_fma_f64 v[32:33], v[62:63], s[18:19], -v[64:65]
	;; [unrolled: 1-line block ×3, first 2 shown]
	v_fmac_f64_e32 v[26:27], s[4:5], v[28:29]
	v_fma_f64 v[28:29], v[62:63], s[20:21], -v[30:31]
	v_fmac_f64_e32 v[30:31], s[4:5], v[34:35]
	v_fma_f64 v[34:35], v[76:77], s[12:13], -v[66:67]
	v_fma_f64 v[62:63], v[12:13], s[12:13], -v[68:69]
	;; [unrolled: 1-line block ×3, first 2 shown]
	v_fmac_f64_e32 v[66:67], s[22:23], v[14:15]
	v_fmac_f64_e32 v[68:69], s[22:23], v[16:17]
	v_fma_f64 v[70:71], v[16:17], s[26:27], -v[72:73]
	v_add_f64 v[72:73], v[26:27], v[74:75]
	v_add_f64 v[76:77], v[30:31], v[18:19]
	;; [unrolled: 1-line block ×6, first 2 shown]
	v_fmac_f64_e32 v[34:35], s[24:25], v[22:23]
	v_fmac_f64_e32 v[62:63], s[24:25], v[24:25]
	;; [unrolled: 1-line block ×6, first 2 shown]
	v_add_f64 v[18:19], v[54:55], -v[64:65]
	v_add_f64 v[20:21], v[26:27], -v[62:63]
	v_add_f64 v[22:23], v[34:35], v[30:31]
	v_add_f64 v[24:25], v[62:63], v[26:27]
	v_add_f64 v[26:27], v[30:31], -v[34:35]
	v_add_f64 v[30:31], v[64:65], v[54:55]
	v_add_f64 v[54:55], v[56:57], v[50:51]
	;; [unrolled: 3-line block ×3, first 2 shown]
	v_add_f64 v[52:53], v[58:59], -v[52:53]
	v_add_f64 v[58:59], v[36:37], v[48:49]
	v_add_f64 v[36:37], v[36:37], -v[48:49]
	v_add_f64 v[48:49], v[38:39], v[42:43]
	;; [unrolled: 2-line block ×5, first 2 shown]
	v_add_f64 v[42:43], v[48:49], v[42:43]
	v_add_f64 v[44:45], v[60:61], v[44:45]
	;; [unrolled: 1-line block ×4, first 2 shown]
	v_add_f64 v[14:15], v[76:77], -v[66:67]
	v_add_f64 v[16:17], v[70:71], v[32:33]
	v_add_f64 v[28:29], v[32:33], -v[70:71]
	v_add_f64 v[32:33], v[72:73], -v[68:69]
	v_add_f64 v[34:35], v[66:67], v[76:77]
	v_add_f64 v[64:65], v[56:57], -v[54:55]
	v_add_f64 v[66:67], v[58:59], -v[62:63]
	;; [unrolled: 1-line block ×6, first 2 shown]
	v_add_f64 v[68:69], v[38:39], v[46:47]
	v_add_f64 v[70:71], v[40:41], v[36:37]
	v_add_f64 v[72:73], v[38:39], -v[46:47]
	v_add_f64 v[74:75], v[40:41], -v[36:37]
	;; [unrolled: 1-line block ×4, first 2 shown]
	v_add_f64 v[2:3], v[2:3], v[44:45]
	v_mov_b64_e32 v[76:77], v[0:1]
	v_add_f64 v[38:39], v[50:51], -v[38:39]
	v_add_f64 v[40:41], v[52:53], -v[40:41]
	v_add_f64 v[48:49], v[68:69], v[50:51]
	v_add_f64 v[50:51], v[70:71], v[52:53]
	v_mul_f64 v[52:53], v[54:55], s[10:11]
	v_mul_f64 v[54:55], v[62:63], s[10:11]
	;; [unrolled: 1-line block ×8, first 2 shown]
	v_fmac_f64_e32 v[76:77], s[16:17], v[42:43]
	v_mov_b64_e32 v[42:43], v[2:3]
	v_fmac_f64_e32 v[42:43], s[16:17], v[44:45]
	v_fma_f64 v[44:45], v[64:65], s[18:19], -v[60:61]
	v_fma_f64 v[60:61], v[66:67], s[18:19], -v[62:63]
	;; [unrolled: 1-line block ×3, first 2 shown]
	v_fmac_f64_e32 v[52:53], s[4:5], v[56:57]
	v_fma_f64 v[56:57], v[66:67], s[20:21], -v[54:55]
	v_fmac_f64_e32 v[54:55], s[4:5], v[58:59]
	v_fma_f64 v[58:59], v[46:47], s[12:13], -v[68:69]
	;; [unrolled: 2-line block ×4, first 2 shown]
	v_fma_f64 v[72:73], v[40:41], s[26:27], -v[74:75]
	ds_write_b128 v9, v[4:7]
	ds_write_b128 v9, v[12:15] offset:544
	ds_write_b128 v9, v[16:19] offset:1088
	;; [unrolled: 1-line block ×6, first 2 shown]
	v_mul_u32_u24_e32 v4, 0xee0, v11
	v_lshlrev_b32_sdwa v5, v8, v110 dst_sel:DWORD dst_unused:UNUSED_PAD src0_sel:DWORD src1_sel:BYTE_0
	v_add_f64 v[74:75], v[52:53], v[76:77]
	v_add_f64 v[78:79], v[54:55], v[42:43]
	;; [unrolled: 1-line block ×6, first 2 shown]
	v_fmac_f64_e32 v[68:69], s[24:25], v[48:49]
	v_fmac_f64_e32 v[70:71], s[24:25], v[50:51]
	;; [unrolled: 1-line block ×6, first 2 shown]
	v_add3_u32 v4, 0, v4, v5
	v_add_f64 v[36:37], v[70:71], v[74:75]
	v_add_f64 v[38:39], v[78:79], -v[68:69]
	v_add_f64 v[40:41], v[72:73], v[60:61]
	v_add_f64 v[42:43], v[56:57], -v[66:67]
	v_add_f64 v[44:45], v[52:53], -v[64:65]
	v_add_f64 v[46:47], v[58:59], v[54:55]
	v_add_f64 v[48:49], v[64:65], v[52:53]
	v_add_f64 v[50:51], v[54:55], -v[58:59]
	v_add_f64 v[52:53], v[60:61], -v[72:73]
	v_add_f64 v[54:55], v[66:67], v[56:57]
	v_add_f64 v[56:57], v[74:75], -v[70:71]
	v_add_f64 v[58:59], v[68:69], v[78:79]
	ds_write_b128 v4, v[0:3]
	ds_write_b128 v4, v[36:39] offset:544
	ds_write_b128 v4, v[40:43] offset:1088
	;; [unrolled: 1-line block ×6, first 2 shown]
	v_mul_u32_u24_e32 v0, 6, v124
	v_lshlrev_b32_e32 v126, 4, v0
	s_waitcnt lgkmcnt(0)
	s_barrier
	global_load_dwordx4 v[0:3], v126, s[8:9] offset:3536
	global_load_dwordx4 v[4:7], v126, s[8:9] offset:3552
	;; [unrolled: 1-line block ×6, first 2 shown]
	v_lshl_add_u64 v[24:25], s[8:9], 0, v[126:127]
	s_mov_b64 s[8:9], 0x2ca0
	v_lshl_add_u64 v[48:49], v[24:25], 0, s[8:9]
	global_load_dwordx4 v[24:27], v[48:49], off offset:3536
	global_load_dwordx4 v[28:31], v[48:49], off offset:3552
	;; [unrolled: 1-line block ×6, first 2 shown]
	ds_read_b128 v[48:51], v125
	ds_read_b128 v[52:55], v129
	;; [unrolled: 1-line block ×3, first 2 shown]
	ds_read_b128 v[60:63], v198 offset:1904
	ds_read_b128 v[64:67], v198 offset:5712
	;; [unrolled: 1-line block ×11, first 2 shown]
	s_waitcnt lgkmcnt(0)
	s_barrier
	s_waitcnt vmcnt(11)
	v_mul_f64 v[104:105], v[50:51], v[2:3]
	v_mul_f64 v[2:3], v[48:49], v[2:3]
	v_fmac_f64_e32 v[104:105], v[48:49], v[0:1]
	v_fma_f64 v[0:1], v[50:51], v[0:1], -v[2:3]
	s_waitcnt vmcnt(10)
	v_mul_f64 v[2:3], v[54:55], v[6:7]
	v_mul_f64 v[6:7], v[52:53], v[6:7]
	v_fmac_f64_e32 v[2:3], v[52:53], v[4:5]
	v_fma_f64 v[4:5], v[54:55], v[4:5], -v[6:7]
	;; [unrolled: 5-line block ×6, first 2 shown]
	s_waitcnt vmcnt(5)
	v_mul_f64 v[22:23], v[64:65], v[26:27]
	v_fma_f64 v[50:51], v[66:67], v[24:25], -v[22:23]
	s_waitcnt vmcnt(4)
	v_mul_f64 v[52:53], v[70:71], v[30:31]
	v_mul_f64 v[22:23], v[68:69], v[30:31]
	v_fmac_f64_e32 v[52:53], v[68:69], v[28:29]
	v_fma_f64 v[28:29], v[70:71], v[28:29], -v[22:23]
	s_waitcnt vmcnt(3)
	v_mul_f64 v[30:31], v[78:79], v[34:35]
	v_mul_f64 v[22:23], v[76:77], v[34:35]
	v_fmac_f64_e32 v[30:31], v[76:77], v[32:33]
	;; [unrolled: 5-line block ×3, first 2 shown]
	v_fma_f64 v[36:37], v[86:87], v[36:37], -v[22:23]
	s_waitcnt vmcnt(1)
	v_mul_f64 v[38:39], v[94:95], v[42:43]
	v_mul_f64 v[22:23], v[92:93], v[42:43]
	;; [unrolled: 1-line block ×3, first 2 shown]
	v_fmac_f64_e32 v[38:39], v[92:93], v[40:41]
	v_fma_f64 v[40:41], v[94:95], v[40:41], -v[22:23]
	s_waitcnt vmcnt(0)
	v_mul_f64 v[42:43], v[102:103], v[46:47]
	v_mul_f64 v[22:23], v[100:101], v[46:47]
	v_fmac_f64_e32 v[48:49], v[64:65], v[24:25]
	v_fmac_f64_e32 v[42:43], v[100:101], v[44:45]
	v_fma_f64 v[44:45], v[102:103], v[44:45], -v[22:23]
	v_add_f64 v[22:23], v[104:105], v[18:19]
	v_add_f64 v[24:25], v[0:1], v[20:21]
	v_add_f64 v[0:1], v[0:1], -v[20:21]
	v_add_f64 v[20:21], v[2:3], v[14:15]
	v_add_f64 v[26:27], v[4:5], v[16:17]
	v_add_f64 v[2:3], v[2:3], -v[14:15]
	v_add_f64 v[4:5], v[4:5], -v[16:17]
	v_add_f64 v[14:15], v[6:7], v[10:11]
	v_add_f64 v[16:17], v[8:9], v[12:13]
	v_add_f64 v[6:7], v[10:11], -v[6:7]
	v_add_f64 v[8:9], v[12:13], -v[8:9]
	v_add_f64 v[10:11], v[20:21], v[22:23]
	v_add_f64 v[12:13], v[26:27], v[24:25]
	;; [unrolled: 1-line block ×4, first 2 shown]
	v_add_f64 v[18:19], v[104:105], -v[18:19]
	v_add_f64 v[54:55], v[26:27], -v[24:25]
	;; [unrolled: 1-line block ×4, first 2 shown]
	v_add_f64 v[64:65], v[6:7], v[2:3]
	v_add_f64 v[70:71], v[8:9], -v[4:5]
	v_add_f64 v[8:9], v[0:1], -v[8:9]
	;; [unrolled: 1-line block ×3, first 2 shown]
	v_add_f64 v[12:13], v[16:17], v[12:13]
	v_add_f64 v[16:17], v[66:67], v[0:1]
	;; [unrolled: 1-line block ×3, first 2 shown]
	v_add_f64 v[46:47], v[20:21], -v[22:23]
	v_add_f64 v[22:23], v[22:23], -v[14:15]
	;; [unrolled: 1-line block ×5, first 2 shown]
	v_add_f64 v[14:15], v[64:65], v[18:19]
	v_add_f64 v[2:3], v[58:59], v[12:13]
	v_mul_f64 v[64:65], v[70:71], s[14:15]
	v_mov_b64_e32 v[70:71], v[0:1]
	v_add_f64 v[6:7], v[18:19], -v[6:7]
	v_mul_f64 v[18:19], v[22:23], s[10:11]
	v_mul_f64 v[22:23], v[24:25], s[10:11]
	;; [unrolled: 1-line block ×6, first 2 shown]
	v_fmac_f64_e32 v[70:71], s[16:17], v[10:11]
	v_mov_b64_e32 v[10:11], v[2:3]
	v_mul_f64 v[68:69], v[4:5], s[12:13]
	v_fmac_f64_e32 v[10:11], s[16:17], v[12:13]
	v_fma_f64 v[12:13], v[46:47], s[18:19], -v[24:25]
	v_fma_f64 v[24:25], v[54:55], s[18:19], -v[56:57]
	;; [unrolled: 1-line block ×3, first 2 shown]
	v_fmac_f64_e32 v[18:19], s[4:5], v[20:21]
	v_fma_f64 v[20:21], v[54:55], s[20:21], -v[22:23]
	v_fmac_f64_e32 v[22:23], s[4:5], v[26:27]
	v_fma_f64 v[26:27], v[72:73], s[12:13], -v[58:59]
	v_fma_f64 v[54:55], v[4:5], s[12:13], -v[64:65]
	;; [unrolled: 1-line block ×3, first 2 shown]
	v_fmac_f64_e32 v[58:59], s[22:23], v[6:7]
	v_fmac_f64_e32 v[64:65], s[22:23], v[8:9]
	v_fma_f64 v[66:67], v[8:9], s[26:27], -v[68:69]
	v_add_f64 v[68:69], v[18:19], v[70:71]
	v_add_f64 v[72:73], v[22:23], v[10:11]
	;; [unrolled: 1-line block ×6, first 2 shown]
	v_fmac_f64_e32 v[26:27], s[24:25], v[14:15]
	v_fmac_f64_e32 v[54:55], s[24:25], v[16:17]
	;; [unrolled: 1-line block ×6, first 2 shown]
	v_add_f64 v[10:11], v[46:47], -v[56:57]
	v_add_f64 v[12:13], v[18:19], -v[54:55]
	v_add_f64 v[14:15], v[26:27], v[22:23]
	v_add_f64 v[16:17], v[54:55], v[18:19]
	v_add_f64 v[18:19], v[22:23], -v[26:27]
	v_add_f64 v[22:23], v[56:57], v[46:47]
	v_add_f64 v[46:47], v[48:49], v[42:43]
	;; [unrolled: 3-line block ×3, first 2 shown]
	v_add_f64 v[44:45], v[50:51], -v[44:45]
	v_add_f64 v[50:51], v[28:29], v[40:41]
	v_add_f64 v[28:29], v[28:29], -v[40:41]
	v_add_f64 v[40:41], v[30:31], v[34:35]
	;; [unrolled: 2-line block ×5, first 2 shown]
	v_add_f64 v[34:35], v[40:41], v[34:35]
	v_add_f64 v[4:5], v[64:65], v[68:69]
	;; [unrolled: 1-line block ×3, first 2 shown]
	v_add_f64 v[20:21], v[24:25], -v[66:67]
	v_add_f64 v[24:25], v[68:69], -v[64:65]
	v_add_f64 v[66:67], v[32:33], v[28:29]
	v_add_f64 v[68:69], v[30:31], -v[38:39]
	v_add_f64 v[70:71], v[32:33], -v[28:29]
	;; [unrolled: 1-line block ×3, first 2 shown]
	v_add_f64 v[36:37], v[52:53], v[36:37]
	v_add_f64 v[28:29], v[60:61], v[34:35]
	v_add_f64 v[6:7], v[72:73], -v[58:59]
	v_add_f64 v[26:27], v[58:59], v[72:73]
	v_add_f64 v[56:57], v[48:49], -v[46:47]
	v_add_f64 v[58:59], v[50:51], -v[54:55]
	;; [unrolled: 1-line block ×6, first 2 shown]
	v_add_f64 v[64:65], v[30:31], v[38:39]
	v_add_f64 v[72:73], v[42:43], -v[30:31]
	v_add_f64 v[38:39], v[38:39], -v[42:43]
	v_add_f64 v[30:31], v[62:63], v[36:37]
	v_mul_f64 v[60:61], v[68:69], s[14:15]
	v_mov_b64_e32 v[68:69], v[28:29]
	v_add_f64 v[32:33], v[44:45], -v[32:33]
	v_add_f64 v[40:41], v[64:65], v[42:43]
	v_add_f64 v[42:43], v[66:67], v[44:45]
	v_mul_f64 v[44:45], v[46:47], s[10:11]
	v_mul_f64 v[46:47], v[54:55], s[10:11]
	;; [unrolled: 1-line block ×7, first 2 shown]
	v_fmac_f64_e32 v[68:69], s[16:17], v[34:35]
	v_mov_b64_e32 v[34:35], v[30:31]
	v_fmac_f64_e32 v[34:35], s[16:17], v[36:37]
	v_fma_f64 v[36:37], s[4:5], v[48:49], v[44:45]
	v_fma_f64 v[48:49], v[56:57], s[18:19], -v[52:53]
	v_fma_f64 v[52:53], v[58:59], s[18:19], -v[54:55]
	;; [unrolled: 1-line block ×4, first 2 shown]
	v_fmac_f64_e32 v[46:47], s[4:5], v[50:51]
	v_fma_f64 v[56:57], s[22:23], v[72:73], v[60:61]
	v_fma_f64 v[50:51], v[38:39], s[12:13], -v[60:61]
	v_fma_f64 v[58:59], v[74:75], s[12:13], -v[62:63]
	v_fmac_f64_e32 v[62:63], s[22:23], v[32:33]
	v_fma_f64 v[60:61], v[72:73], s[26:27], -v[64:65]
	v_fma_f64 v[64:65], v[32:33], s[26:27], -v[66:67]
	v_add_f64 v[66:67], v[36:37], v[68:69]
	v_add_f64 v[70:71], v[46:47], v[34:35]
	;; [unrolled: 1-line block ×6, first 2 shown]
	v_fmac_f64_e32 v[56:57], s[24:25], v[40:41]
	v_fmac_f64_e32 v[62:63], s[24:25], v[42:43]
	;; [unrolled: 1-line block ×6, first 2 shown]
	v_add_f64 v[32:33], v[62:63], v[66:67]
	v_add_f64 v[34:35], v[70:71], -v[56:57]
	v_add_f64 v[36:37], v[64:65], v[52:53]
	v_add_f64 v[38:39], v[54:55], -v[60:61]
	v_add_f64 v[40:41], v[46:47], -v[58:59]
	v_add_f64 v[42:43], v[50:51], v[48:49]
	v_add_f64 v[44:45], v[58:59], v[46:47]
	v_add_f64 v[46:47], v[48:49], -v[50:51]
	v_add_f64 v[48:49], v[52:53], -v[64:65]
	v_add_f64 v[50:51], v[60:61], v[54:55]
	v_add_f64 v[52:53], v[66:67], -v[62:63]
	v_add_f64 v[54:55], v[56:57], v[70:71]
	ds_write_b128 v198, v[0:3]
	ds_write_b128 v198, v[4:7] offset:3808
	ds_write_b128 v198, v[8:11] offset:7616
	;; [unrolled: 1-line block ×13, first 2 shown]
	s_waitcnt lgkmcnt(0)
	s_barrier
	s_and_saveexec_b64 s[4:5], s[0:1]
	s_cbranch_execz .LBB0_23
; %bb.22:
	v_mul_lo_u32 v0, s3, v122
	v_mul_lo_u32 v1, s2, v123
	v_mad_u64_u32 v[4:5], s[0:1], s2, v122, 0
	v_lshl_add_u32 v12, v124, 4, 0
	v_add3_u32 v5, v5, v1, v0
	ds_read_b128 v[0:3], v12
	v_lshl_add_u64 v[4:5], v[4:5], 4, s[6:7]
	v_lshl_add_u64 v[8:9], v[120:121], 4, v[4:5]
	ds_read_b128 v[4:7], v12 offset:1904
	v_mov_b32_e32 v125, 0
	v_lshl_add_u64 v[10:11], v[124:125], 4, v[8:9]
	s_waitcnt lgkmcnt(1)
	global_store_dwordx4 v[10:11], v[0:3], off
	s_nop 1
	v_add_u32_e32 v0, 0x77, v124
	v_mov_b32_e32 v1, v125
	v_lshl_add_u64 v[0:1], v[0:1], 4, v[8:9]
	s_waitcnt lgkmcnt(0)
	global_store_dwordx4 v[0:1], v[4:7], off
	ds_read_b128 v[0:3], v12 offset:3808
	s_nop 0
	v_add_u32_e32 v4, 0xee, v124
	v_mov_b32_e32 v5, v125
	v_lshl_add_u64 v[10:11], v[4:5], 4, v[8:9]
	ds_read_b128 v[4:7], v12 offset:5712
	s_waitcnt lgkmcnt(1)
	global_store_dwordx4 v[10:11], v[0:3], off
	s_nop 1
	v_add_u32_e32 v0, 0x165, v124
	v_mov_b32_e32 v1, v125
	v_lshl_add_u64 v[0:1], v[0:1], 4, v[8:9]
	s_waitcnt lgkmcnt(0)
	global_store_dwordx4 v[0:1], v[4:7], off
	ds_read_b128 v[0:3], v12 offset:7616
	s_nop 0
	v_add_u32_e32 v4, 0x1dc, v124
	v_mov_b32_e32 v5, v125
	v_lshl_add_u64 v[10:11], v[4:5], 4, v[8:9]
	ds_read_b128 v[4:7], v12 offset:9520
	;; [unrolled: 14-line block ×5, first 2 shown]
	s_waitcnt lgkmcnt(1)
	global_store_dwordx4 v[10:11], v[0:3], off
	v_add_u32_e32 v10, 0x594, v124
	v_mov_b32_e32 v11, v125
	v_add_u32_e32 v0, 0x51d, v124
	v_mov_b32_e32 v1, v125
	v_lshl_add_u64 v[0:1], v[0:1], 4, v[8:9]
	s_waitcnt lgkmcnt(0)
	global_store_dwordx4 v[0:1], v[4:7], off
	ds_read_b128 v[0:3], v12 offset:22848
	ds_read_b128 v[4:7], v12 offset:24752
	v_lshl_add_u64 v[10:11], v[10:11], 4, v[8:9]
	v_add_u32_e32 v124, 0x60b, v124
	s_waitcnt lgkmcnt(1)
	global_store_dwordx4 v[10:11], v[0:3], off
	s_nop 1
	v_lshl_add_u64 v[0:1], v[124:125], 4, v[8:9]
	s_waitcnt lgkmcnt(0)
	global_store_dwordx4 v[0:1], v[4:7], off
.LBB0_23:
	s_endpgm
	.section	.rodata,"a",@progbits
	.p2align	6, 0x0
	.amdhsa_kernel fft_rtc_back_len1666_factors_17_2_7_7_wgs_119_tpt_119_halfLds_dp_op_CI_CI_unitstride_sbrr_C2R_dirReg
		.amdhsa_group_segment_fixed_size 0
		.amdhsa_private_segment_fixed_size 0
		.amdhsa_kernarg_size 104
		.amdhsa_user_sgpr_count 2
		.amdhsa_user_sgpr_dispatch_ptr 0
		.amdhsa_user_sgpr_queue_ptr 0
		.amdhsa_user_sgpr_kernarg_segment_ptr 1
		.amdhsa_user_sgpr_dispatch_id 0
		.amdhsa_user_sgpr_kernarg_preload_length 0
		.amdhsa_user_sgpr_kernarg_preload_offset 0
		.amdhsa_user_sgpr_private_segment_size 0
		.amdhsa_uses_dynamic_stack 0
		.amdhsa_enable_private_segment 0
		.amdhsa_system_sgpr_workgroup_id_x 1
		.amdhsa_system_sgpr_workgroup_id_y 0
		.amdhsa_system_sgpr_workgroup_id_z 0
		.amdhsa_system_sgpr_workgroup_info 0
		.amdhsa_system_vgpr_workitem_id 0
		.amdhsa_next_free_vgpr 234
		.amdhsa_next_free_sgpr 58
		.amdhsa_accum_offset 236
		.amdhsa_reserve_vcc 1
		.amdhsa_float_round_mode_32 0
		.amdhsa_float_round_mode_16_64 0
		.amdhsa_float_denorm_mode_32 3
		.amdhsa_float_denorm_mode_16_64 3
		.amdhsa_dx10_clamp 1
		.amdhsa_ieee_mode 1
		.amdhsa_fp16_overflow 0
		.amdhsa_tg_split 0
		.amdhsa_exception_fp_ieee_invalid_op 0
		.amdhsa_exception_fp_denorm_src 0
		.amdhsa_exception_fp_ieee_div_zero 0
		.amdhsa_exception_fp_ieee_overflow 0
		.amdhsa_exception_fp_ieee_underflow 0
		.amdhsa_exception_fp_ieee_inexact 0
		.amdhsa_exception_int_div_zero 0
	.end_amdhsa_kernel
	.text
.Lfunc_end0:
	.size	fft_rtc_back_len1666_factors_17_2_7_7_wgs_119_tpt_119_halfLds_dp_op_CI_CI_unitstride_sbrr_C2R_dirReg, .Lfunc_end0-fft_rtc_back_len1666_factors_17_2_7_7_wgs_119_tpt_119_halfLds_dp_op_CI_CI_unitstride_sbrr_C2R_dirReg
                                        ; -- End function
	.section	.AMDGPU.csdata,"",@progbits
; Kernel info:
; codeLenInByte = 14956
; NumSgprs: 64
; NumVgprs: 234
; NumAgprs: 0
; TotalNumVgprs: 234
; ScratchSize: 0
; MemoryBound: 0
; FloatMode: 240
; IeeeMode: 1
; LDSByteSize: 0 bytes/workgroup (compile time only)
; SGPRBlocks: 7
; VGPRBlocks: 29
; NumSGPRsForWavesPerEU: 64
; NumVGPRsForWavesPerEU: 234
; AccumOffset: 236
; Occupancy: 2
; WaveLimiterHint : 1
; COMPUTE_PGM_RSRC2:SCRATCH_EN: 0
; COMPUTE_PGM_RSRC2:USER_SGPR: 2
; COMPUTE_PGM_RSRC2:TRAP_HANDLER: 0
; COMPUTE_PGM_RSRC2:TGID_X_EN: 1
; COMPUTE_PGM_RSRC2:TGID_Y_EN: 0
; COMPUTE_PGM_RSRC2:TGID_Z_EN: 0
; COMPUTE_PGM_RSRC2:TIDIG_COMP_CNT: 0
; COMPUTE_PGM_RSRC3_GFX90A:ACCUM_OFFSET: 58
; COMPUTE_PGM_RSRC3_GFX90A:TG_SPLIT: 0
	.text
	.p2alignl 6, 3212836864
	.fill 256, 4, 3212836864
	.type	__hip_cuid_cf05353f6aec3d03,@object ; @__hip_cuid_cf05353f6aec3d03
	.section	.bss,"aw",@nobits
	.globl	__hip_cuid_cf05353f6aec3d03
__hip_cuid_cf05353f6aec3d03:
	.byte	0                               ; 0x0
	.size	__hip_cuid_cf05353f6aec3d03, 1

	.ident	"AMD clang version 19.0.0git (https://github.com/RadeonOpenCompute/llvm-project roc-6.4.0 25133 c7fe45cf4b819c5991fe208aaa96edf142730f1d)"
	.section	".note.GNU-stack","",@progbits
	.addrsig
	.addrsig_sym __hip_cuid_cf05353f6aec3d03
	.amdgpu_metadata
---
amdhsa.kernels:
  - .agpr_count:     0
    .args:
      - .actual_access:  read_only
        .address_space:  global
        .offset:         0
        .size:           8
        .value_kind:     global_buffer
      - .offset:         8
        .size:           8
        .value_kind:     by_value
      - .actual_access:  read_only
        .address_space:  global
        .offset:         16
        .size:           8
        .value_kind:     global_buffer
      - .actual_access:  read_only
        .address_space:  global
        .offset:         24
        .size:           8
        .value_kind:     global_buffer
      - .actual_access:  read_only
        .address_space:  global
        .offset:         32
        .size:           8
        .value_kind:     global_buffer
      - .offset:         40
        .size:           8
        .value_kind:     by_value
      - .actual_access:  read_only
        .address_space:  global
        .offset:         48
        .size:           8
        .value_kind:     global_buffer
      - .actual_access:  read_only
        .address_space:  global
        .offset:         56
        .size:           8
        .value_kind:     global_buffer
      - .offset:         64
        .size:           4
        .value_kind:     by_value
      - .actual_access:  read_only
        .address_space:  global
        .offset:         72
        .size:           8
        .value_kind:     global_buffer
      - .actual_access:  read_only
        .address_space:  global
        .offset:         80
        .size:           8
        .value_kind:     global_buffer
      - .actual_access:  read_only
        .address_space:  global
        .offset:         88
        .size:           8
        .value_kind:     global_buffer
      - .actual_access:  write_only
        .address_space:  global
        .offset:         96
        .size:           8
        .value_kind:     global_buffer
    .group_segment_fixed_size: 0
    .kernarg_segment_align: 8
    .kernarg_segment_size: 104
    .language:       OpenCL C
    .language_version:
      - 2
      - 0
    .max_flat_workgroup_size: 119
    .name:           fft_rtc_back_len1666_factors_17_2_7_7_wgs_119_tpt_119_halfLds_dp_op_CI_CI_unitstride_sbrr_C2R_dirReg
    .private_segment_fixed_size: 0
    .sgpr_count:     64
    .sgpr_spill_count: 0
    .symbol:         fft_rtc_back_len1666_factors_17_2_7_7_wgs_119_tpt_119_halfLds_dp_op_CI_CI_unitstride_sbrr_C2R_dirReg.kd
    .uniform_work_group_size: 1
    .uses_dynamic_stack: false
    .vgpr_count:     234
    .vgpr_spill_count: 0
    .wavefront_size: 64
amdhsa.target:   amdgcn-amd-amdhsa--gfx950
amdhsa.version:
  - 1
  - 2
...

	.end_amdgpu_metadata
